;; amdgpu-corpus repo=ROCm/rocFFT kind=compiled arch=gfx950 opt=O3
	.text
	.amdgcn_target "amdgcn-amd-amdhsa--gfx950"
	.amdhsa_code_object_version 6
	.protected	fft_rtc_fwd_len168_factors_2_3_4_7_wgs_196_tpt_14_dim3_sp_ip_CI_sbcc_twdbase8_3step_dirReg ; -- Begin function fft_rtc_fwd_len168_factors_2_3_4_7_wgs_196_tpt_14_dim3_sp_ip_CI_sbcc_twdbase8_3step_dirReg
	.globl	fft_rtc_fwd_len168_factors_2_3_4_7_wgs_196_tpt_14_dim3_sp_ip_CI_sbcc_twdbase8_3step_dirReg
	.p2align	8
	.type	fft_rtc_fwd_len168_factors_2_3_4_7_wgs_196_tpt_14_dim3_sp_ip_CI_sbcc_twdbase8_3step_dirReg,@function
fft_rtc_fwd_len168_factors_2_3_4_7_wgs_196_tpt_14_dim3_sp_ip_CI_sbcc_twdbase8_3step_dirReg: ; @fft_rtc_fwd_len168_factors_2_3_4_7_wgs_196_tpt_14_dim3_sp_ip_CI_sbcc_twdbase8_3step_dirReg
; %bb.0:
	s_load_dwordx4 s[4:7], s[0:1], 0x10
	s_mov_b32 s3, 0
	s_waitcnt lgkmcnt(0)
	s_load_dwordx2 s[8:9], s[4:5], 0x8
	s_waitcnt lgkmcnt(0)
	s_add_u32 s10, s8, -1
	s_addc_u32 s11, s9, -1
	s_add_u32 s12, 0, 0x49240800
	s_addc_u32 s13, 0, 50
	s_mul_hi_u32 s15, s12, -14
	s_add_i32 s13, s13, 0x12492460
	s_sub_i32 s15, s15, s12
	s_mul_i32 s18, s13, -14
	s_mul_i32 s14, s12, -14
	s_add_i32 s15, s15, s18
	s_mul_hi_u32 s16, s13, s14
	s_mul_i32 s17, s13, s14
	s_mul_i32 s19, s12, s15
	s_mul_hi_u32 s14, s12, s14
	s_mul_hi_u32 s18, s12, s15
	s_add_u32 s14, s14, s19
	s_addc_u32 s18, 0, s18
	s_add_u32 s14, s14, s17
	s_mul_hi_u32 s19, s13, s15
	s_addc_u32 s14, s18, s16
	s_addc_u32 s16, s19, 0
	s_mul_i32 s15, s13, s15
	s_add_u32 s14, s14, s15
	v_mov_b32_e32 v1, s14
	s_addc_u32 s15, 0, s16
	v_add_co_u32_e32 v1, vcc, s12, v1
	s_cmp_lg_u64 vcc, 0
	s_addc_u32 s12, s13, s15
	v_readfirstlane_b32 s15, v1
	s_mul_i32 s14, s10, s12
	s_mul_hi_u32 s16, s10, s15
	s_mul_hi_u32 s13, s10, s12
	s_add_u32 s14, s16, s14
	s_addc_u32 s13, 0, s13
	s_mul_hi_u32 s17, s11, s15
	s_mul_i32 s15, s11, s15
	s_add_u32 s14, s14, s15
	s_mul_hi_u32 s16, s11, s12
	s_addc_u32 s13, s13, s17
	s_addc_u32 s14, s16, 0
	s_mul_i32 s12, s11, s12
	s_add_u32 s12, s13, s12
	s_addc_u32 s13, 0, s14
	s_add_u32 s14, s12, 1
	s_addc_u32 s15, s13, 0
	s_add_u32 s16, s12, 2
	s_mul_i32 s18, s13, 14
	s_mul_hi_u32 s19, s12, 14
	s_addc_u32 s17, s13, 0
	s_add_i32 s19, s19, s18
	s_mul_i32 s18, s12, 14
	v_mov_b32_e32 v1, s18
	v_sub_co_u32_e32 v1, vcc, s10, v1
	s_cmp_lg_u64 vcc, 0
	s_subb_u32 s10, s11, s19
	v_subrev_co_u32_e32 v2, vcc, 14, v1
	s_cmp_lg_u64 vcc, 0
	s_subb_u32 s11, s10, 0
	v_readfirstlane_b32 s18, v2
	s_cmp_gt_u32 s18, 13
	s_cselect_b32 s18, -1, 0
	s_cmp_eq_u32 s11, 0
	s_cselect_b32 s11, s18, -1
	s_cmp_lg_u32 s11, 0
	s_cselect_b32 s11, s16, s14
	s_cselect_b32 s14, s17, s15
	v_readfirstlane_b32 s15, v1
	s_cmp_gt_u32 s15, 13
	s_cselect_b32 s15, -1, 0
	s_cmp_eq_u32 s10, 0
	s_cselect_b32 s10, s15, -1
	s_cmp_lg_u32 s10, 0
	s_cselect_b32 s11, s11, s12
	s_cselect_b32 s10, s14, s13
	s_add_u32 s16, s11, 1
	s_addc_u32 s17, s10, 0
	v_mov_b64_e32 v[2:3], s[16:17]
	v_cmp_lt_u64_e32 vcc, s[2:3], v[2:3]
	s_mov_b64 s[18:19], 0
	s_cbranch_vccnz .LBB0_2
; %bb.1:
	v_cvt_f32_u32_e32 v1, s16
	s_sub_i32 s10, 0, s16
	s_mov_b32 s19, s3
	v_rcp_iflag_f32_e32 v1, v1
	s_nop 0
	v_mul_f32_e32 v1, 0x4f7ffffe, v1
	v_cvt_u32_f32_e32 v1, v1
	s_nop 0
	v_readfirstlane_b32 s11, v1
	s_mul_i32 s10, s10, s11
	s_mul_hi_u32 s10, s11, s10
	s_add_i32 s11, s11, s10
	s_mul_hi_u32 s10, s2, s11
	s_mul_i32 s12, s10, s16
	s_sub_i32 s12, s2, s12
	s_add_i32 s11, s10, 1
	s_sub_i32 s13, s12, s16
	s_cmp_ge_u32 s12, s16
	s_cselect_b32 s10, s11, s10
	s_cselect_b32 s12, s13, s12
	s_add_i32 s11, s10, 1
	s_cmp_ge_u32 s12, s16
	s_cselect_b32 s18, s11, s10
.LBB0_2:
	s_load_dwordx2 s[14:15], s[4:5], 0x10
	s_load_dwordx2 s[10:11], s[6:7], 0x8
	s_mov_b64 s[20:21], s[18:19]
	s_waitcnt lgkmcnt(0)
	v_mov_b64_e32 v[2:3], s[14:15]
	v_cmp_lt_u64_e32 vcc, s[18:19], v[2:3]
	s_cbranch_vccnz .LBB0_4
; %bb.3:
	v_cvt_f32_u32_e32 v1, s14
	s_sub_i32 s4, 0, s14
	v_rcp_iflag_f32_e32 v1, v1
	s_nop 0
	v_mul_f32_e32 v1, 0x4f7ffffe, v1
	v_cvt_u32_f32_e32 v1, v1
	s_nop 0
	v_readfirstlane_b32 s5, v1
	s_mul_i32 s4, s4, s5
	s_mul_hi_u32 s4, s5, s4
	s_add_i32 s5, s5, s4
	s_mul_hi_u32 s4, s18, s5
	s_mul_i32 s4, s4, s14
	s_sub_i32 s4, s18, s4
	s_sub_i32 s5, s4, s14
	s_cmp_ge_u32 s4, s14
	s_cselect_b32 s4, s5, s4
	s_sub_i32 s5, s4, s14
	s_cmp_ge_u32 s4, s14
	s_cselect_b32 s20, s5, s4
.LBB0_4:
	s_mul_i32 s4, s14, s17
	s_mul_hi_u32 s5, s14, s16
	s_add_i32 s4, s5, s4
	s_mul_i32 s5, s15, s16
	s_load_dwordx2 s[12:13], s[0:1], 0x50
	s_add_i32 s15, s4, s5
	s_load_dwordx2 s[4:5], s[6:7], 0x0
	s_load_dwordx2 s[22:23], s[6:7], 0x10
	s_mul_i32 s14, s14, s16
	v_mov_b64_e32 v[2:3], s[14:15]
	v_cmp_lt_u64_e32 vcc, s[2:3], v[2:3]
	s_mov_b64 s[24:25], 0
	s_cbranch_vccnz .LBB0_6
; %bb.5:
	v_cvt_f32_u32_e32 v1, s14
	s_sub_i32 s3, 0, s14
	v_rcp_iflag_f32_e32 v1, v1
	s_nop 0
	v_mul_f32_e32 v1, 0x4f7ffffe, v1
	v_cvt_u32_f32_e32 v1, v1
	s_nop 0
	v_readfirstlane_b32 s15, v1
	s_mul_i32 s3, s3, s15
	s_mul_hi_u32 s3, s15, s3
	s_add_i32 s15, s15, s3
	s_mul_hi_u32 s3, s2, s15
	s_mul_i32 s19, s3, s14
	s_sub_i32 s19, s2, s19
	s_add_i32 s15, s3, 1
	s_sub_i32 s21, s19, s14
	s_cmp_ge_u32 s19, s14
	s_cselect_b32 s3, s15, s3
	s_cselect_b32 s19, s21, s19
	s_add_i32 s15, s3, 1
	s_cmp_ge_u32 s19, s14
	s_cselect_b32 s24, s15, s3
.LBB0_6:
	s_mul_i32 s3, s18, s17
	s_mul_hi_u32 s17, s18, s16
	s_add_i32 s17, s17, s3
	s_mul_i32 s3, s18, s16
	s_sub_u32 s16, s2, s3
	s_subb_u32 s2, 0, s17
	s_mul_i32 s17, s2, 14
	s_mul_hi_u32 s2, s16, 14
	s_add_i32 s18, s2, s17
	s_mul_i32 s19, s16, 14
	s_mul_i32 s2, s10, s18
	s_mul_hi_u32 s3, s10, s19
	s_add_i32 s2, s3, s2
	s_mul_i32 s3, s11, s19
	s_add_i32 s21, s2, s3
	s_load_dwordx2 s[2:3], s[6:7], 0x18
	s_waitcnt lgkmcnt(0)
	s_mul_i32 s23, s23, s20
	s_mul_hi_u32 s26, s22, s20
	s_mul_i32 s25, s10, s19
	s_add_i32 s26, s26, s23
	s_mul_i32 s6, s22, s20
	s_add_u32 s6, s6, s25
	s_mul_i32 s3, s3, s24
	s_mul_hi_u32 s20, s2, s24
	v_mul_u32_u24_e32 v1, 0x124a, v0
	s_addc_u32 s7, s26, s21
	s_add_i32 s20, s20, s3
	s_mul_i32 s2, s2, s24
	v_lshrrev_b32_e32 v83, 16, v1
	s_add_u32 s6, s2, s6
	v_mul_lo_u16_e32 v1, 14, v83
	s_load_dwordx2 s[14:15], s[0:1], 0x0
	s_addc_u32 s7, s20, s7
	v_sub_u16_e32 v18, v0, v1
	v_mov_b32_e32 v19, 0
	v_mad_u64_u32 v[20:21], s[2:3], s16, 14, v[18:19]
	s_add_u32 s16, s19, 14
	v_add_u32_e32 v21, s17, v21
	s_addc_u32 s17, s18, 0
	v_mov_b64_e32 v[2:3], s[8:9]
	v_cmp_gt_u64_e32 vcc, s[16:17], v[2:3]
	v_cmp_le_u64_e64 s[2:3], s[16:17], v[2:3]
	s_and_b64 vcc, exec, vcc
	v_add_u32_e32 v30, 14, v83
	v_add_u32_e32 v31, 28, v83
	;; [unrolled: 1-line block ×4, first 2 shown]
	s_cbranch_vccnz .LBB0_8
; %bb.7:
	v_mad_u64_u32 v[2:3], s[16:17], s10, v18, 0
	v_mov_b32_e32 v4, v3
	v_mad_u64_u32 v[4:5], s[16:17], s11, v18, v[4:5]
	v_mov_b32_e32 v3, v4
	;; [unrolled: 2-line block ×3, first 2 shown]
	v_mad_u64_u32 v[6:7], s[16:17], s5, v83, v[6:7]
	s_lshl_b64 s[16:17], s[6:7], 3
	s_add_u32 s16, s12, s16
	s_addc_u32 s17, s13, s17
	v_add_u32_e32 v1, 0x54, v83
	v_mov_b32_e32 v5, v6
	v_lshl_add_u64 v[22:23], v[2:3], 3, s[16:17]
	v_mad_u64_u32 v[2:3], s[16:17], s4, v1, 0
	v_lshl_add_u64 v[10:11], v[4:5], 3, v[22:23]
	v_mov_b32_e32 v4, v3
	v_mad_u64_u32 v[4:5], s[16:17], s5, v1, v[4:5]
	v_mov_b32_e32 v3, v4
	v_add_u32_e32 v19, 14, v83
	v_lshl_add_u64 v[12:13], v[2:3], 3, v[22:23]
	v_mad_u64_u32 v[2:3], s[16:17], s4, v19, 0
	v_mov_b32_e32 v4, v3
	v_mad_u64_u32 v[4:5], s[16:17], s5, v19, v[4:5]
	v_mov_b32_e32 v3, v4
	v_add_u32_e32 v1, 0x62, v83
	v_lshl_add_u64 v[14:15], v[2:3], 3, v[22:23]
	v_mad_u64_u32 v[2:3], s[16:17], s4, v1, 0
	v_mov_b32_e32 v4, v3
	v_mad_u64_u32 v[4:5], s[16:17], s5, v1, v[4:5]
	v_mov_b32_e32 v3, v4
	v_add_u32_e32 v1, 28, v83
	v_lshl_add_u64 v[16:17], v[2:3], 3, v[22:23]
	global_load_dwordx2 v[6:7], v[10:11], off
	global_load_dwordx2 v[8:9], v[12:13], off
	;; [unrolled: 1-line block ×4, first 2 shown]
	v_mad_u64_u32 v[10:11], s[16:17], s4, v1, 0
	v_mov_b32_e32 v12, v11
	v_mad_u64_u32 v[12:13], s[16:17], s5, v1, v[12:13]
	v_mov_b32_e32 v11, v12
	v_add_u32_e32 v13, 0x70, v83
	v_lshl_add_u64 v[24:25], v[10:11], 3, v[22:23]
	v_mad_u64_u32 v[10:11], s[16:17], s4, v13, 0
	v_mov_b32_e32 v12, v11
	v_mad_u64_u32 v[12:13], s[16:17], s5, v13, v[12:13]
	v_mov_b32_e32 v11, v12
	v_add_u32_e32 v34, 42, v83
	v_lshl_add_u64 v[26:27], v[10:11], 3, v[22:23]
	;; [unrolled: 6-line block ×4, first 2 shown]
	global_load_dwordx2 v[10:11], v[24:25], off
	global_load_dwordx2 v[14:15], v[26:27], off
	;; [unrolled: 1-line block ×4, first 2 shown]
	v_mad_u64_u32 v[24:25], s[16:17], s4, v35, 0
	v_mov_b32_e32 v26, v25
	v_mad_u64_u32 v[26:27], s[16:17], s5, v35, v[26:27]
	v_mov_b32_e32 v25, v26
	v_add_u32_e32 v27, 0x8c, v83
	v_lshl_add_u64 v[36:37], v[24:25], 3, v[22:23]
	v_mad_u64_u32 v[24:25], s[16:17], s4, v27, 0
	v_mov_b32_e32 v26, v25
	v_mad_u64_u32 v[26:27], s[16:17], s5, v27, v[26:27]
	v_mov_b32_e32 v25, v26
	v_add_u32_e32 v27, 0x46, v83
	v_lshl_add_u64 v[38:39], v[24:25], 3, v[22:23]
	;; [unrolled: 6-line block ×3, first 2 shown]
	v_mad_u64_u32 v[24:25], s[16:17], s4, v27, 0
	v_mov_b32_e32 v26, v25
	v_mad_u64_u32 v[26:27], s[16:17], s5, v27, v[26:27]
	v_mov_b32_e32 v25, v26
	v_lshl_add_u64 v[42:43], v[24:25], 3, v[22:23]
	global_load_dwordx2 v[22:23], v[36:37], off
	global_load_dwordx2 v[26:27], v[38:39], off
	;; [unrolled: 1-line block ×4, first 2 shown]
	s_cbranch_execz .LBB0_9
	s_branch .LBB0_14
.LBB0_8:
                                        ; implicit-def: $vgpr5
                                        ; implicit-def: $vgpr3
                                        ; implicit-def: $vgpr15
                                        ; implicit-def: $vgpr11
                                        ; implicit-def: $vgpr17
                                        ; implicit-def: $vgpr13
                                        ; implicit-def: $vgpr27
                                        ; implicit-def: $vgpr23
                                        ; implicit-def: $vgpr29
                                        ; implicit-def: $vgpr25
                                        ; implicit-def: $vgpr9
                                        ; implicit-def: $vgpr7
                                        ; implicit-def: $vgpr19
                                        ; implicit-def: $vgpr1
                                        ; implicit-def: $vgpr34
                                        ; implicit-def: $vgpr35
.LBB0_9:
	v_cmp_le_u64_e32 vcc, s[8:9], v[20:21]
                                        ; implicit-def: $vgpr19
                                        ; implicit-def: $vgpr1
                                        ; implicit-def: $vgpr34
                                        ; implicit-def: $vgpr35
	s_and_saveexec_b64 s[16:17], vcc
	s_xor_b64 s[16:17], exec, s[16:17]
; %bb.10:
	v_add_u32_e32 v19, 14, v83
	v_add_u32_e32 v1, 28, v83
	;; [unrolled: 1-line block ×4, first 2 shown]
                                        ; implicit-def: $vgpr30
                                        ; implicit-def: $vgpr31
                                        ; implicit-def: $vgpr32
                                        ; implicit-def: $vgpr33
; %bb.11:
	s_or_saveexec_b64 s[16:17], s[16:17]
                                        ; implicit-def: $vgpr5
                                        ; implicit-def: $vgpr3
                                        ; implicit-def: $vgpr15
                                        ; implicit-def: $vgpr11
                                        ; implicit-def: $vgpr17
                                        ; implicit-def: $vgpr13
                                        ; implicit-def: $vgpr27
                                        ; implicit-def: $vgpr23
                                        ; implicit-def: $vgpr29
                                        ; implicit-def: $vgpr25
                                        ; implicit-def: $vgpr9
                                        ; implicit-def: $vgpr7
	s_xor_b64 exec, exec, s[16:17]
	s_cbranch_execz .LBB0_13
; %bb.12:
	s_waitcnt vmcnt(9)
	v_mad_u64_u32 v[2:3], s[18:19], s10, v18, 0
	s_waitcnt vmcnt(8)
	v_mov_b32_e32 v4, v3
	v_mad_u64_u32 v[4:5], s[18:19], s11, v18, v[4:5]
	v_mov_b32_e32 v3, v4
	v_mad_u64_u32 v[4:5], s[18:19], s4, v83, 0
	;; [unrolled: 2-line block ×3, first 2 shown]
	s_lshl_b64 s[18:19], s[6:7], 3
	s_add_u32 s18, s12, s18
	s_addc_u32 s19, s13, s19
	v_add_u32_e32 v1, 0x54, v83
	v_mov_b32_e32 v5, v6
	s_waitcnt vmcnt(3)
	v_lshl_add_u64 v[22:23], v[2:3], 3, s[18:19]
	v_mad_u64_u32 v[2:3], s[18:19], s4, v1, 0
	v_lshl_add_u64 v[10:11], v[4:5], 3, v[22:23]
	v_mov_b32_e32 v4, v3
	v_mad_u64_u32 v[4:5], s[18:19], s5, v1, v[4:5]
	v_mov_b32_e32 v3, v4
	v_lshl_add_u64 v[12:13], v[2:3], 3, v[22:23]
	v_mad_u64_u32 v[2:3], s[18:19], s4, v30, 0
	v_mov_b32_e32 v4, v3
	v_mad_u64_u32 v[4:5], s[18:19], s5, v30, v[4:5]
	v_mov_b32_e32 v3, v4
	v_add_u32_e32 v1, 0x62, v83
	v_lshl_add_u64 v[14:15], v[2:3], 3, v[22:23]
	v_mad_u64_u32 v[2:3], s[18:19], s4, v1, 0
	v_mov_b32_e32 v4, v3
	v_mad_u64_u32 v[4:5], s[18:19], s5, v1, v[4:5]
	v_mov_b32_e32 v3, v4
	v_lshl_add_u64 v[16:17], v[2:3], 3, v[22:23]
	global_load_dwordx2 v[6:7], v[10:11], off
	global_load_dwordx2 v[8:9], v[12:13], off
	;; [unrolled: 1-line block ×4, first 2 shown]
	v_mad_u64_u32 v[10:11], s[18:19], s4, v31, 0
	v_mov_b32_e32 v12, v11
	v_mad_u64_u32 v[12:13], s[18:19], s5, v31, v[12:13]
	v_mov_b32_e32 v11, v12
	v_add_u32_e32 v1, 0x70, v83
	s_waitcnt vmcnt(5)
	v_lshl_add_u64 v[24:25], v[10:11], 3, v[22:23]
	v_mad_u64_u32 v[10:11], s[18:19], s4, v1, 0
	v_mov_b32_e32 v12, v11
	v_mad_u64_u32 v[12:13], s[18:19], s5, v1, v[12:13]
	v_mov_b32_e32 v11, v12
	v_lshl_add_u64 v[26:27], v[10:11], 3, v[22:23]
	v_mad_u64_u32 v[10:11], s[18:19], s4, v32, 0
	v_mov_b32_e32 v12, v11
	v_mad_u64_u32 v[12:13], s[18:19], s5, v32, v[12:13]
	v_mov_b32_e32 v11, v12
	v_add_u32_e32 v1, 0x7e, v83
	s_waitcnt vmcnt(4)
	v_lshl_add_u64 v[28:29], v[10:11], 3, v[22:23]
	v_mad_u64_u32 v[10:11], s[18:19], s4, v1, 0
	v_mov_b32_e32 v12, v11
	v_mad_u64_u32 v[12:13], s[18:19], s5, v1, v[12:13]
	v_mov_b32_e32 v11, v12
	v_lshl_add_u64 v[34:35], v[10:11], 3, v[22:23]
	global_load_dwordx2 v[10:11], v[24:25], off
	global_load_dwordx2 v[14:15], v[26:27], off
	;; [unrolled: 1-line block ×4, first 2 shown]
	v_mad_u64_u32 v[24:25], s[18:19], s4, v33, 0
	v_mov_b32_e32 v26, v25
	v_mad_u64_u32 v[26:27], s[18:19], s5, v33, v[26:27]
	v_mov_b32_e32 v25, v26
	v_add_u32_e32 v1, 0x8c, v83
	v_lshl_add_u64 v[34:35], v[24:25], 3, v[22:23]
	v_mad_u64_u32 v[24:25], s[18:19], s4, v1, 0
	v_mov_b32_e32 v26, v25
	v_mad_u64_u32 v[26:27], s[18:19], s5, v1, v[26:27]
	v_mov_b32_e32 v25, v26
	v_add_u32_e32 v1, 0x46, v83
	v_lshl_add_u64 v[36:37], v[24:25], 3, v[22:23]
	;; [unrolled: 6-line block ×3, first 2 shown]
	v_mad_u64_u32 v[24:25], s[18:19], s4, v1, 0
	v_mov_b32_e32 v26, v25
	v_mad_u64_u32 v[26:27], s[18:19], s5, v1, v[26:27]
	v_mov_b32_e32 v25, v26
	v_lshl_add_u64 v[40:41], v[24:25], 3, v[22:23]
	global_load_dwordx2 v[22:23], v[34:35], off
	global_load_dwordx2 v[26:27], v[36:37], off
	;; [unrolled: 1-line block ×4, first 2 shown]
	v_mov_b32_e32 v19, v30
	v_mov_b32_e32 v1, v31
	;; [unrolled: 1-line block ×4, first 2 shown]
.LBB0_13:
	s_or_b64 exec, exec, s[16:17]
.LBB0_14:
	s_waitcnt vmcnt(10)
	v_pk_add_f32 v[8:9], v[6:7], v[8:9] neg_lo:[0,1] neg_hi:[0,1]
	v_mul_u32_u24_e32 v30, 0xe0, v83
	v_lshlrev_b32_e32 v47, 3, v18
	v_add3_u32 v30, 0, v30, v47
	v_pk_fma_f32 v[6:7], v[6:7], 2.0, v[8:9] op_sel_hi:[1,0,1] neg_lo:[0,0,1] neg_hi:[0,0,1]
	s_waitcnt vmcnt(8)
	v_pk_add_f32 v[4:5], v[2:3], v[4:5] neg_lo:[0,1] neg_hi:[0,1]
	ds_write2_b64 v30, v[6:7], v[8:9] offset1:14
	v_mul_i32_i24_e32 v6, 0xe0, v19
	v_add3_u32 v8, 0, v6, v47
	v_pk_fma_f32 v[2:3], v[2:3], 2.0, v[4:5] op_sel_hi:[1,0,1] neg_lo:[0,0,1] neg_hi:[0,0,1]
	s_waitcnt vmcnt(6)
	v_pk_add_f32 v[14:15], v[10:11], v[14:15] neg_lo:[0,1] neg_hi:[0,1]
	ds_write2_b64 v8, v[2:3], v[4:5] offset1:14
	v_mul_i32_i24_e32 v2, 0xe0, v1
	;; [unrolled: 6-line block ×4, first 2 shown]
	s_waitcnt vmcnt(0)
	v_pk_add_f32 v[28:29], v[24:25], v[28:29] neg_lo:[0,1] neg_hi:[0,1]
	v_add3_u32 v11, 0, v2, v47
	v_pk_fma_f32 v[2:3], v[22:23], 2.0, v[26:27] op_sel_hi:[1,0,1] neg_lo:[0,0,1] neg_hi:[0,0,1]
	ds_write2_b64 v11, v[2:3], v[26:27] offset1:14
	v_pk_fma_f32 v[2:3], v[24:25], 2.0, v[28:29] op_sel_hi:[1,0,1] neg_lo:[0,0,1] neg_hi:[0,0,1]
	v_add_u32_e32 v4, 0x3800, v30
	v_and_b32_e32 v12, 1, v83
	ds_write2_b64 v4, v[2:3], v[28:29] offset0:168 offset1:182
	v_lshlrev_b32_e32 v2, 4, v12
	s_waitcnt lgkmcnt(0)
	s_barrier
	global_load_dwordx4 v[4:7], v2, s[14:15]
	s_movk_i32 s16, 0xff90
	v_lshrrev_b32_e32 v2, 1, v83
	v_lshrrev_b32_e32 v3, 1, v19
	;; [unrolled: 1-line block ×4, first 2 shown]
	v_mul_u32_u24_e32 v15, 6, v2
	v_mul_lo_u32 v16, v3, 6
	v_mul_lo_u32 v13, v13, 6
	;; [unrolled: 1-line block ×3, first 2 shown]
	v_mad_i32_i24 v2, v83, s16, v30
	v_mad_i32_i24 v11, v35, s16, v11
	s_movk_i32 s17, 0x70
	v_mad_i32_i24 v3, v19, s16, v8
	v_mad_i32_i24 v48, v1, s16, v9
	;; [unrolled: 1-line block ×3, first 2 shown]
	v_or_b32_e32 v8, v15, v12
	v_or_b32_e32 v9, v16, v12
	;; [unrolled: 1-line block ×4, first 2 shown]
	ds_read_b64 v[16:17], v11
	v_add_u32_e32 v11, 0x2a00, v2
	v_add_u32_e32 v13, 0x1e00, v2
	;; [unrolled: 1-line block ×3, first 2 shown]
	v_mul_u32_u24_e32 v30, 0x70, v8
	v_mul_lo_u32 v31, v9, s17
	v_mul_lo_u32 v32, v10, s17
	;; [unrolled: 1-line block ×3, first 2 shown]
	ds_read_b64 v[26:27], v49
	ds_read_b64 v[28:29], v48
	ds_read2_b64 v[8:11], v11 offset0:28 offset1:224
	ds_read2_b64 v[12:15], v13 offset0:20 offset1:216
	ds_read2_b64 v[22:25], v22 offset0:36 offset1:232
	v_add3_u32 v46, 0, v30, v47
	v_add3_u32 v50, 0, v31, v47
	;; [unrolled: 1-line block ×4, first 2 shown]
	s_mov_b32 s16, 0x3f5db3d7
	s_waitcnt vmcnt(0) lgkmcnt(2)
	v_pk_mul_f32 v[30:31], v[4:5], v[8:9] op_sel:[0,1]
	s_nop 0
	v_pk_fma_f32 v[38:39], v[4:5], v[8:9], v[30:31] op_sel:[0,0,1] op_sel_hi:[1,1,0] neg_lo:[0,0,1] neg_hi:[0,0,1]
	v_pk_fma_f32 v[8:9], v[4:5], v[8:9], v[30:31] op_sel:[0,0,1] op_sel_hi:[1,0,0]
	v_mov_b32_e32 v36, v7
	v_mov_b32_e32 v39, v9
	ds_read_b64 v[8:9], v2 offset:17248
	s_waitcnt lgkmcnt(1)
	v_pk_mul_f32 v[32:33], v[6:7], v[24:25] op_sel:[0,1]
	v_pk_mul_f32 v[34:35], v[4:5], v[14:15] op_sel:[0,1]
	v_pk_fma_f32 v[30:31], v[6:7], v[24:25], v[32:33] op_sel:[0,0,1] op_sel_hi:[1,1,0] neg_lo:[0,0,1] neg_hi:[0,0,1]
	v_pk_fma_f32 v[24:25], v[6:7], v[24:25], v[32:33] op_sel:[0,0,1] op_sel_hi:[1,0,0]
	s_waitcnt lgkmcnt(0)
	v_pk_mul_f32 v[36:37], v[8:9], v[36:37] op_sel_hi:[1,0]
	v_pk_fma_f32 v[32:33], v[4:5], v[14:15], v[34:35] op_sel:[0,0,1] op_sel_hi:[1,1,0] neg_lo:[0,0,1] neg_hi:[0,0,1]
	v_pk_fma_f32 v[40:41], v[8:9], v[6:7], v[36:37] op_sel:[0,0,1] op_sel_hi:[1,1,0] neg_lo:[0,0,1] neg_hi:[0,0,1]
	v_pk_fma_f32 v[8:9], v[8:9], v[6:7], v[36:37] op_sel:[0,0,1] op_sel_hi:[1,0,0]
	v_pk_mul_f32 v[36:37], v[4:5], v[12:13] op_sel:[0,1]
	v_pk_fma_f32 v[14:15], v[4:5], v[14:15], v[34:35] op_sel:[0,0,1] op_sel_hi:[1,0,0]
	v_mov_b32_e32 v31, v25
	ds_read_b64 v[24:25], v3
	ds_read_b64 v[34:35], v2
	v_pk_fma_f32 v[42:43], v[4:5], v[12:13], v[36:37] op_sel:[0,0,1] op_sel_hi:[1,1,0] neg_lo:[0,0,1] neg_hi:[0,0,1]
	v_pk_fma_f32 v[12:13], v[4:5], v[12:13], v[36:37] op_sel:[0,0,1] op_sel_hi:[1,0,0]
	v_pk_mul_f32 v[36:37], v[6:7], v[22:23] op_sel:[0,1]
	v_mov_b32_e32 v43, v13
	v_pk_fma_f32 v[44:45], v[6:7], v[22:23], v[36:37] op_sel:[0,0,1] op_sel_hi:[1,1,0] neg_lo:[0,0,1] neg_hi:[0,0,1]
	v_pk_fma_f32 v[22:23], v[6:7], v[22:23], v[36:37] op_sel:[0,0,1] op_sel_hi:[1,0,0]
	s_waitcnt lgkmcnt(1)
	v_pk_add_f32 v[12:13], v[24:25], v[42:43]
	v_mov_b32_e32 v45, v23
	v_pk_add_f32 v[22:23], v[42:43], v[44:45]
	v_mov_b32_e32 v33, v15
	v_pk_fma_f32 v[22:23], v[22:23], 0.5, v[24:25] op_sel_hi:[1,0,1] neg_lo:[1,0,0] neg_hi:[1,0,0]
	v_pk_add_f32 v[24:25], v[42:43], v[44:45] neg_lo:[0,1] neg_hi:[0,1]
	v_pk_add_f32 v[12:13], v[12:13], v[44:45]
	v_pk_mul_f32 v[24:25], v[24:25], s[16:17] op_sel_hi:[1,0]
	s_waitcnt lgkmcnt(0)
	v_pk_add_f32 v[36:37], v[22:23], v[24:25] op_sel:[0,1] op_sel_hi:[1,0]
	v_pk_add_f32 v[22:23], v[22:23], v[24:25] op_sel:[0,1] op_sel_hi:[1,0] neg_lo:[0,1] neg_hi:[0,1]
	v_pk_mul_f32 v[24:25], v[4:5], v[16:17] op_sel:[0,1]
	s_barrier
	v_pk_fma_f32 v[42:43], v[4:5], v[16:17], v[24:25] op_sel:[0,0,1] op_sel_hi:[1,1,0] neg_lo:[0,0,1] neg_hi:[0,0,1]
	v_pk_fma_f32 v[4:5], v[4:5], v[16:17], v[24:25] op_sel:[0,0,1] op_sel_hi:[1,0,0]
	v_pk_mul_f32 v[16:17], v[6:7], v[10:11] op_sel:[0,1]
	v_mov_b32_e32 v43, v5
	v_pk_fma_f32 v[24:25], v[6:7], v[10:11], v[16:17] op_sel:[0,0,1] op_sel_hi:[1,1,0] neg_lo:[0,0,1] neg_hi:[0,0,1]
	v_pk_fma_f32 v[6:7], v[6:7], v[10:11], v[16:17] op_sel:[0,0,1] op_sel_hi:[1,0,0]
	v_pk_add_f32 v[4:5], v[34:35], v[42:43]
	v_mov_b32_e32 v25, v7
	v_pk_add_f32 v[6:7], v[42:43], v[24:25]
	v_pk_add_f32 v[10:11], v[42:43], v[24:25] neg_lo:[0,1] neg_hi:[0,1]
	v_pk_fma_f32 v[6:7], v[6:7], 0.5, v[34:35] op_sel_hi:[1,0,1] neg_lo:[1,0,0] neg_hi:[1,0,0]
	v_pk_mul_f32 v[10:11], v[10:11], s[16:17] op_sel_hi:[1,0]
	v_pk_add_f32 v[4:5], v[4:5], v[24:25]
	v_pk_add_f32 v[16:17], v[6:7], v[10:11] op_sel:[0,1] op_sel_hi:[1,0]
	v_pk_add_f32 v[6:7], v[6:7], v[10:11] op_sel:[0,1] op_sel_hi:[1,0] neg_lo:[0,1] neg_hi:[0,1]
	v_mov_b32_e32 v10, v16
	v_mov_b32_e32 v11, v7
	ds_write2_b64 v46, v[4:5], v[10:11] offset1:28
	v_mov_b32_e32 v7, v17
	v_mov_b32_e32 v4, v36
	;; [unrolled: 1-line block ×3, first 2 shown]
	ds_write_b64 v46, v[6:7] offset:448
	ds_write2_b64 v50, v[12:13], v[4:5] offset1:28
	v_pk_add_f32 v[4:5], v[32:33], v[30:31]
	v_pk_add_f32 v[6:7], v[32:33], v[30:31] neg_lo:[0,1] neg_hi:[0,1]
	v_pk_fma_f32 v[4:5], v[4:5], 0.5, v[28:29] op_sel_hi:[1,0,1] neg_lo:[1,0,0] neg_hi:[1,0,0]
	v_pk_mul_f32 v[6:7], v[6:7], s[16:17] op_sel_hi:[1,0]
	v_mov_b32_e32 v41, v9
	v_pk_add_f32 v[8:9], v[28:29], v[32:33]
	v_pk_add_f32 v[10:11], v[4:5], v[6:7] op_sel:[0,1] op_sel_hi:[1,0]
	v_pk_add_f32 v[4:5], v[4:5], v[6:7] op_sel:[0,1] op_sel_hi:[1,0] neg_lo:[0,1] neg_hi:[0,1]
	v_pk_add_f32 v[8:9], v[8:9], v[30:31]
	v_mov_b32_e32 v23, v37
	v_mov_b32_e32 v6, v10
	;; [unrolled: 1-line block ×4, first 2 shown]
	ds_write_b64 v50, v[22:23] offset:448
	ds_write2_b64 v51, v[8:9], v[6:7] offset1:28
	ds_write_b64 v51, v[4:5] offset:448
	v_pk_add_f32 v[4:5], v[38:39], v[40:41]
	v_pk_add_f32 v[6:7], v[38:39], v[40:41] neg_lo:[0,1] neg_hi:[0,1]
	v_pk_fma_f32 v[4:5], v[4:5], 0.5, v[26:27] op_sel_hi:[1,0,1] neg_lo:[1,0,0] neg_hi:[1,0,0]
	v_pk_mul_f32 v[6:7], v[6:7], s[16:17] op_sel_hi:[1,0]
	s_movk_i32 s16, 0xab
	v_pk_add_f32 v[8:9], v[4:5], v[6:7] op_sel:[0,1] op_sel_hi:[1,0]
	v_pk_add_f32 v[4:5], v[4:5], v[6:7] op_sel:[0,1] op_sel_hi:[1,0] neg_lo:[0,1] neg_hi:[0,1]
	v_mov_b32_e32 v12, 3
	v_mov_b32_e32 v7, v5
	;; [unrolled: 1-line block ×3, first 2 shown]
	ds_write_b64 v52, v[4:5] offset:448
	v_mul_lo_u16_sdwa v4, v1, s16 dst_sel:DWORD dst_unused:UNUSED_PAD src0_sel:BYTE_0 src1_sel:DWORD
	v_lshrrev_b16_e32 v45, 10, v4
	v_mul_lo_u16_e32 v4, 6, v45
	v_sub_u16_e32 v1, v1, v4
	v_pk_add_f32 v[14:15], v[26:27], v[38:39]
	v_mul_u32_u24_sdwa v4, v1, v12 dst_sel:DWORD dst_unused:UNUSED_PAD src0_sel:BYTE_0 src1_sel:DWORD
	v_pk_add_f32 v[14:15], v[14:15], v[40:41]
	v_mov_b32_e32 v6, v8
	v_lshlrev_b32_e32 v8, 3, v4
	ds_write2_b64 v52, v[14:15], v[6:7] offset1:28
	s_waitcnt lgkmcnt(0)
	s_barrier
	global_load_dwordx4 v[4:7], v8, s[14:15] offset:32
	global_load_dwordx2 v[16:17], v8, s[14:15] offset:48
	v_mul_lo_u16_sdwa v8, v19, s16 dst_sel:DWORD dst_unused:UNUSED_PAD src0_sel:BYTE_0 src1_sel:DWORD
	v_lshrrev_b16_e32 v50, 10, v8
	v_mul_lo_u16_e32 v8, 6, v50
	v_sub_u16_e32 v51, v19, v8
	v_mul_u32_u24_sdwa v8, v51, v12 dst_sel:DWORD dst_unused:UNUSED_PAD src0_sel:BYTE_0 src1_sel:DWORD
	v_lshlrev_b32_e32 v13, 3, v8
	global_load_dwordx4 v[8:11], v13, s[14:15] offset:32
	global_load_dwordx2 v[30:31], v13, s[14:15] offset:48
	v_mul_lo_u16_e32 v52, 43, v83
	v_mov_b32_e32 v13, 6
	v_mul_lo_u16_sdwa v13, v52, v13 dst_sel:DWORD dst_unused:UNUSED_PAD src0_sel:BYTE_1 src1_sel:DWORD
	v_sub_u16_e32 v53, v83, v13
	v_mul_u32_u24_sdwa v12, v53, v12 dst_sel:DWORD dst_unused:UNUSED_PAD src0_sel:BYTE_0 src1_sel:DWORD
	v_lshlrev_b32_e32 v22, 3, v12
	global_load_dwordx4 v[12:15], v22, s[14:15] offset:32
	global_load_dwordx2 v[40:41], v22, s[14:15] offset:48
	v_add_u32_e32 v22, 0x2400, v2
	ds_read2_b64 v[26:29], v22 offset0:24 offset1:220
	v_add_u32_e32 v32, 0x3000, v2
	v_add_u32_e32 v22, 0x1800, v2
	ds_read2_b64 v[22:25], v22 offset0:16 offset1:212
	ds_read2_b64 v[32:35], v32 offset0:32 offset1:228
	v_add_u32_e32 v36, 0x3c00, v2
	ds_read2_b64 v[36:39], v36 offset0:40 offset1:236
	s_movk_i32 s16, 0x8b
	v_cmp_lt_u32_e32 vcc, s16, v0
	s_waitcnt lgkmcnt(1)
	v_mov_b32_e32 v44, v33
	s_waitcnt vmcnt(5)
	v_mov_b32_e32 v42, v5
	v_pk_mul_f32 v[42:43], v[24:25], v[42:43] op_sel:[1,0] op_sel_hi:[0,1]
	v_pk_fma_f32 v[42:43], v[24:25], v[4:5], v[42:43] neg_lo:[0,0,1] neg_hi:[0,0,1]
	v_pk_mul_f32 v[4:5], v[24:25], v[4:5] op_sel:[1,0] op_sel_hi:[0,1]
	v_pk_mul_f32 v[24:25], v[32:33], v[6:7]
	v_mov_b32_e32 v46, v7
	v_mov_b32_e32 v24, v25
	v_pk_fma_f32 v[24:25], v[32:33], v[6:7], v[24:25] neg_lo:[0,0,1] neg_hi:[0,0,1]
	v_pk_mul_f32 v[32:33], v[32:33], v[46:47]
	s_nop 0
	v_pk_fma_f32 v[6:7], v[44:45], v[6:7], v[32:33]
	s_waitcnt vmcnt(4)
	v_mov_b32_e32 v32, v17
	s_waitcnt lgkmcnt(0)
	v_pk_mul_f32 v[32:33], v[38:39], v[32:33] op_sel:[1,0] op_sel_hi:[0,1]
	v_pk_fma_f32 v[32:33], v[38:39], v[16:17], v[32:33] neg_lo:[0,0,1] neg_hi:[0,0,1]
	v_pk_mul_f32 v[16:17], v[38:39], v[16:17] op_sel:[1,0] op_sel_hi:[0,1]
	v_mov_b32_e32 v38, v4
	v_mov_b32_e32 v39, v16
	;; [unrolled: 1-line block ×3, first 2 shown]
	v_pk_add_f32 v[4:5], v[38:39], v[16:17]
	s_waitcnt vmcnt(3)
	v_pk_mul_f32 v[16:17], v[8:9], v[22:23] op_sel:[0,1]
	v_mov_b32_e32 v7, 24
	v_pk_fma_f32 v[38:39], v[8:9], v[22:23], v[16:17] op_sel:[1,0,0] op_sel_hi:[0,1,1]
	v_pk_fma_f32 v[8:9], v[8:9], v[22:23], v[16:17] op_sel:[1,0,0] op_sel_hi:[0,0,1] neg_lo:[0,0,1] neg_hi:[0,0,1]
	v_mov_b32_e32 v39, v9
	v_mov_b32_e32 v8, v11
	;; [unrolled: 1-line block ×3, first 2 shown]
	v_pk_mul_f32 v[8:9], v[8:9], v[28:29] op_sel:[0,1]
	v_mul_u32_u24_sdwa v7, v52, v7 dst_sel:DWORD dst_unused:UNUSED_PAD src0_sel:BYTE_1 src1_sel:DWORD
	v_pk_fma_f32 v[16:17], v[10:11], v[28:29], v[8:9] neg_lo:[0,0,1] neg_hi:[0,0,1]
	v_pk_fma_f32 v[8:9], v[10:11], v[28:29], v[8:9] op_sel_hi:[1,0,1]
	ds_read_b64 v[10:11], v3
	v_mov_b32_e32 v17, v9
	s_waitcnt vmcnt(2)
	v_pk_mul_f32 v[8:9], v[36:37], v[30:31] op_sel:[0,1]
	v_or_b32_sdwa v7, v7, v53 dst_sel:DWORD dst_unused:UNUSED_PAD src0_sel:DWORD src1_sel:BYTE_0
	v_pk_fma_f32 v[22:23], v[36:37], v[30:31], v[8:9] op_sel:[1,0,0] op_sel_hi:[0,1,1]
	v_pk_fma_f32 v[8:9], v[36:37], v[30:31], v[8:9] op_sel:[1,0,0] op_sel_hi:[0,0,1] neg_lo:[0,0,1] neg_hi:[0,0,1]
	v_mov_b32_e32 v23, v9
	ds_read_b64 v[8:9], v2
	s_waitcnt lgkmcnt(1)
	v_pk_add_f32 v[16:17], v[10:11], v[16:17] neg_lo:[0,1] neg_hi:[0,1]
	v_pk_add_f32 v[28:29], v[38:39], v[22:23] neg_lo:[0,1] neg_hi:[0,1]
	v_mul_u32_u24_e32 v7, 0x70, v7
	v_pk_add_f32 v[22:23], v[16:17], v[28:29] neg_lo:[0,1] neg_hi:[0,1]
	v_pk_add_f32 v[30:31], v[16:17], v[28:29]
	v_add3_u32 v44, 0, v7, v47
	v_mov_b32_e32 v23, v31
	ds_read_b64 v[30:31], v49
	ds_read_b64 v[36:37], v48
	v_mul_u32_u24_e32 v7, 24, v50
	v_or_b32_sdwa v7, v7, v51 dst_sel:DWORD dst_unused:UNUSED_PAD src0_sel:DWORD src1_sel:BYTE_0
	v_mul_u32_u24_e32 v7, 0x70, v7
	v_add3_u32 v46, 0, v7, v47
	v_mul_u32_u24_e32 v7, 24, v45
	v_mov_b32_e32 v25, v6
	v_mov_b32_e32 v43, v4
	;; [unrolled: 1-line block ×3, first 2 shown]
	v_or_b32_sdwa v1, v7, v1 dst_sel:DWORD dst_unused:UNUSED_PAD src0_sel:DWORD src1_sel:BYTE_0
	s_waitcnt lgkmcnt(0)
	v_pk_add_f32 v[6:7], v[36:37], v[24:25] neg_lo:[0,1] neg_hi:[0,1]
	v_pk_add_f32 v[4:5], v[42:43], v[32:33] neg_lo:[0,1] neg_hi:[0,1]
	v_pk_fma_f32 v[36:37], v[36:37], 2.0, v[6:7] op_sel_hi:[1,0,1] neg_lo:[0,0,1] neg_hi:[0,0,1]
	v_pk_fma_f32 v[24:25], v[42:43], 2.0, v[4:5] op_sel_hi:[1,0,1] neg_lo:[0,0,1] neg_hi:[0,0,1]
	;; [unrolled: 1-line block ×3, first 2 shown]
	v_pk_add_f32 v[24:25], v[36:37], v[24:25] neg_lo:[0,1] neg_hi:[0,1]
	v_pk_fma_f32 v[10:11], v[10:11], 2.0, v[16:17] op_sel_hi:[1,0,1] neg_lo:[0,0,1] neg_hi:[0,0,1]
	v_pk_fma_f32 v[32:33], v[36:37], 2.0, v[24:25] op_sel_hi:[1,0,1] neg_lo:[0,0,1] neg_hi:[0,0,1]
	s_waitcnt vmcnt(1)
	v_pk_mul_f32 v[36:37], v[12:13], v[30:31] op_sel:[0,1]
	v_pk_add_f32 v[28:29], v[10:11], v[28:29] op_sel:[0,1] op_sel_hi:[1,0] neg_lo:[0,1] neg_hi:[0,1]
	v_pk_fma_f32 v[38:39], v[12:13], v[30:31], v[36:37] op_sel:[0,0,1] op_sel_hi:[1,1,0] neg_lo:[0,0,1] neg_hi:[0,0,1]
	v_pk_fma_f32 v[12:13], v[12:13], v[30:31], v[36:37] op_sel:[0,0,1] op_sel_hi:[1,0,0]
	s_nop 0
	v_mov_b32_e32 v39, v13
	v_pk_mul_f32 v[12:13], v[14:15], v[26:27] op_sel:[0,1]
	s_barrier
	v_pk_fma_f32 v[30:31], v[14:15], v[26:27], v[12:13] op_sel:[0,0,1] op_sel_hi:[1,1,0] neg_lo:[0,0,1] neg_hi:[0,0,1]
	v_pk_fma_f32 v[12:13], v[14:15], v[26:27], v[12:13] op_sel:[0,0,1] op_sel_hi:[1,0,0]
	s_nop 0
	v_mov_b32_e32 v31, v13
	s_waitcnt vmcnt(0)
	v_pk_mul_f32 v[12:13], v[40:41], v[34:35] op_sel:[0,1]
	v_mul_u32_u24_e32 v1, 0x70, v1
	v_pk_fma_f32 v[14:15], v[40:41], v[34:35], v[12:13] op_sel:[0,0,1] op_sel_hi:[1,1,0] neg_lo:[0,0,1] neg_hi:[0,0,1]
	v_pk_fma_f32 v[12:13], v[40:41], v[34:35], v[12:13] op_sel:[0,0,1] op_sel_hi:[1,0,0]
	v_pk_fma_f32 v[10:11], v[10:11], 2.0, v[28:29] op_sel_hi:[1,0,1] neg_lo:[0,0,1] neg_hi:[0,0,1]
	v_mov_b32_e32 v15, v13
	v_pk_add_f32 v[12:13], v[8:9], v[30:31] neg_lo:[0,1] neg_hi:[0,1]
	v_pk_add_f32 v[14:15], v[38:39], v[14:15] neg_lo:[0,1] neg_hi:[0,1]
	v_pk_fma_f32 v[8:9], v[8:9], 2.0, v[12:13] op_sel_hi:[1,0,1] neg_lo:[0,0,1] neg_hi:[0,0,1]
	v_pk_fma_f32 v[26:27], v[38:39], 2.0, v[14:15] op_sel_hi:[1,0,1] neg_lo:[0,0,1] neg_hi:[0,0,1]
	v_pk_add_f32 v[30:31], v[12:13], v[14:15] op_sel:[0,1] op_sel_hi:[1,0] neg_lo:[0,1] neg_hi:[0,1]
	v_pk_add_f32 v[14:15], v[12:13], v[14:15] op_sel:[0,1] op_sel_hi:[1,0]
	v_pk_add_f32 v[26:27], v[8:9], v[26:27] neg_lo:[0,1] neg_hi:[0,1]
	v_mov_b32_e32 v31, v15
	v_pk_fma_f32 v[8:9], v[8:9], 2.0, v[26:27] op_sel_hi:[1,0,1] neg_lo:[0,0,1] neg_hi:[0,0,1]
	v_pk_fma_f32 v[12:13], v[12:13], 2.0, v[30:31] op_sel_hi:[1,0,1] neg_lo:[0,0,1] neg_hi:[0,0,1]
	ds_write2_b64 v44, v[8:9], v[12:13] offset1:84
	ds_write2_b64 v44, v[26:27], v[30:31] offset0:168 offset1:252
	v_pk_add_f32 v[26:27], v[6:7], v[4:5] op_sel:[0,1] op_sel_hi:[1,0] neg_lo:[0,1] neg_hi:[0,1]
	v_pk_add_f32 v[4:5], v[6:7], v[4:5] op_sel:[0,1] op_sel_hi:[1,0]
	v_pk_fma_f32 v[8:9], v[16:17], 2.0, v[22:23] op_sel_hi:[1,0,1] neg_lo:[0,0,1] neg_hi:[0,0,1]
	v_mov_b32_e32 v27, v5
	v_add3_u32 v1, 0, v1, v47
	ds_write2_b64 v46, v[10:11], v[8:9] offset1:84
	ds_write2_b64 v46, v[28:29], v[22:23] offset0:168 offset1:252
	v_pk_fma_f32 v[28:29], v[6:7], 2.0, v[26:27] op_sel_hi:[1,0,1] neg_lo:[0,0,1] neg_hi:[0,0,1]
	ds_write2_b64 v1, v[32:33], v[28:29] offset1:84
	ds_write2_b64 v1, v[24:25], v[26:27] offset0:168 offset1:252
	s_waitcnt lgkmcnt(0)
	s_barrier
	ds_read_b64 v[38:39], v2
	ds_read_b64 v[46:47], v2 offset:2688
	ds_read_b64 v[50:51], v2 offset:5376
	ds_read_b64 v[48:49], v2 offset:8064
	ds_read_b64 v[40:41], v2 offset:10752
	ds_read_b64 v[44:45], v2 offset:13440
	ds_read_b64 v[42:43], v2 offset:16128
                                        ; implicit-def: $vgpr36
                                        ; implicit-def: $vgpr30_vgpr31
	s_and_saveexec_b64 s[16:17], vcc
	s_xor_b64 s[16:17], exec, s[16:17]
; %bb.15:
	v_mov_b32_e32 v36, v26
	v_mov_b64_e32 v[30:31], v[26:27]
                                        ; implicit-def: $vgpr3
                                        ; implicit-def: $vgpr2
; %bb.16:
	s_or_saveexec_b64 s[16:17], s[16:17]
	s_movk_i32 s18, 0x8c
                                        ; implicit-def: $vgpr34
	s_xor_b64 exec, exec, s[16:17]
	s_cbranch_execz .LBB0_18
; %bb.17:
	v_add_u32_e32 v1, 0x1800, v2
	ds_read_b64 v[34:35], v2 offset:15008
	ds_read_b64 v[36:37], v2 offset:17696
	ds_read_b64 v[22:23], v3
	ds_read_b64 v[32:33], v2 offset:4256
	ds_read_b64 v[24:25], v2 offset:9632
	;; [unrolled: 1-line block ×3, first 2 shown]
	ds_read2_b32 v[28:29], v1 offset0:200 offset1:201
	s_waitcnt lgkmcnt(5)
	v_mov_b32_e32 v30, v36
	s_waitcnt lgkmcnt(1)
	v_mov_b32_e32 v31, v27
.LBB0_18:
	s_or_b64 exec, exec, s[16:17]
	v_mul_lo_u16_e32 v1, 11, v83
	v_mov_b32_e32 v2, 24
	s_load_dwordx2 s[0:1], s[0:1], 0x8
	v_mul_lo_u16_sdwa v1, v1, v2 dst_sel:DWORD dst_unused:UNUSED_PAD src0_sel:BYTE_1 src1_sel:DWORD
	v_sub_u16_e32 v1, v83, v1
	v_and_b32_e32 v27, 0xff, v1
	v_mul_lo_u32 v2, v20, v27
	v_mov_b32_e32 v1, 3
	v_lshlrev_b32_sdwa v3, v1, v2 dst_sel:DWORD dst_unused:UNUSED_PAD src0_sel:DWORD src1_sel:BYTE_0
	v_add_u32_e32 v89, 24, v27
	v_lshlrev_b32_sdwa v4, v1, v2 dst_sel:DWORD dst_unused:UNUSED_PAD src0_sel:DWORD src1_sel:BYTE_1
	s_waitcnt lgkmcnt(0)
	global_load_dwordx2 v[52:53], v3, s[0:1]
	global_load_dwordx2 v[54:55], v4, s[0:1] offset:2048
	v_mul_lo_u32 v3, v20, v89
	v_lshlrev_b32_sdwa v4, v1, v3 dst_sel:DWORD dst_unused:UNUSED_PAD src0_sel:DWORD src1_sel:BYTE_0
	v_mul_u32_u24_e32 v5, 6, v27
	global_load_dwordx2 v[56:57], v4, s[0:1]
	v_lshlrev_b32_sdwa v4, v1, v3 dst_sel:DWORD dst_unused:UNUSED_PAD src0_sel:DWORD src1_sel:BYTE_1
	v_lshlrev_b32_e32 v5, 3, v5
	global_load_dwordx4 v[10:13], v5, s[14:15] offset:176
	global_load_dwordx4 v[6:9], v5, s[14:15] offset:208
	global_load_dwordx2 v[66:67], v4, s[0:1] offset:2048
	v_or_b32_e32 v4, 0x60, v27
	v_mul_lo_u32 v4, v20, v4
	v_lshlrev_b32_sdwa v14, v1, v4 dst_sel:DWORD dst_unused:UNUSED_PAD src0_sel:DWORD src1_sel:BYTE_0
	v_lshlrev_b32_sdwa v15, v1, v4 dst_sel:DWORD dst_unused:UNUSED_PAD src0_sel:DWORD src1_sel:BYTE_1
	global_load_dwordx2 v[68:69], v14, s[0:1]
	global_load_dwordx2 v[74:75], v15, s[0:1] offset:2048
	v_add_u32_e32 v96, 48, v27
	v_mul_lo_u32 v58, v20, v96
	v_lshlrev_b32_sdwa v59, v1, v58 dst_sel:DWORD dst_unused:UNUSED_PAD src0_sel:DWORD src1_sel:BYTE_0
	v_lshlrev_b32_sdwa v60, v1, v58 dst_sel:DWORD dst_unused:UNUSED_PAD src0_sel:DWORD src1_sel:BYTE_1
	global_load_dwordx2 v[70:71], v59, s[0:1]
	global_load_dwordx2 v[72:73], v60, s[0:1] offset:2048
	global_load_dwordx4 v[14:17], v5, s[14:15] offset:192
	s_movk_i32 s16, 0xab
	v_mul_lo_u16_sdwa v5, v19, s16 dst_sel:DWORD dst_unused:UNUSED_PAD src0_sel:BYTE_0 src1_sel:DWORD
	v_lshrrev_b16_e32 v5, 12, v5
	v_mul_lo_u16_e32 v5, 24, v5
	v_add_u32_e32 v97, 0x78, v27
	v_sub_u16_e32 v5, v19, v5
	v_mov_b32_e32 v79, 0x1000
	v_bfe_u32 v2, v2, 16, 8
	v_mul_lo_u32 v78, v20, v97
	v_and_b32_e32 v85, 0xff, v5
	v_bfe_u32 v3, v3, 16, 8
	v_lshl_or_b32 v2, v2, 3, v79
	v_bfe_u32 v4, v4, 16, 8
	v_lshlrev_b32_sdwa v82, v1, v78 dst_sel:DWORD dst_unused:UNUSED_PAD src0_sel:DWORD src1_sel:BYTE_0
	v_mul_u32_u24_e32 v5, 6, v85
	v_bfe_u32 v58, v58, 16, 8
	v_lshl_or_b32 v90, v3, 3, v79
	v_add_u32_e32 v98, 0x48, v27
	global_load_dwordx2 v[62:63], v2, s[0:1]
	v_lshl_or_b32 v91, v4, 3, v79
	v_lshlrev_b32_e32 v81, 3, v5
	v_lshl_or_b32 v94, v58, 3, v79
	global_load_dwordx2 v[64:65], v90, s[0:1]
	global_load_dwordx2 v[60:61], v91, s[0:1]
	;; [unrolled: 1-line block ×3, first 2 shown]
	global_load_dwordx4 v[2:5], v81, s[14:15] offset:176
	v_mul_lo_u32 v80, v20, v98
	v_lshlrev_b32_sdwa v84, v1, v80 dst_sel:DWORD dst_unused:UNUSED_PAD src0_sel:DWORD src1_sel:BYTE_0
	v_lshlrev_b32_sdwa v88, v1, v80 dst_sel:DWORD dst_unused:UNUSED_PAD src0_sel:DWORD src1_sel:BYTE_1
	v_mov_b32_e32 v76, v51
	v_mov_b32_e32 v77, v45
	;; [unrolled: 1-line block ×3, first 2 shown]
	v_add_u32_e32 v99, 0x90, v27
	v_mov_b32_e32 v87, v44
	s_mov_b32 s16, 0xbf955555
	s_mov_b32 s20, 0x3d64c772
	;; [unrolled: 1-line block ×3, first 2 shown]
	s_andn2_b64 vcc, exec, s[2:3]
	s_waitcnt vmcnt(14)
	v_mul_f32_e32 v82, v53, v55
	v_mul_f32_e32 v95, v52, v55
	v_fma_f32 v82, v52, v54, -v82
	v_fmac_f32_e32 v95, v53, v54
	s_waitcnt vmcnt(12)
	v_mov_b32_e32 v90, v13
	s_waitcnt vmcnt(11)
	v_mov_b32_e32 v91, v7
	s_waitcnt vmcnt(10)
	v_mul_f32_e32 v54, v57, v67
	v_mul_f32_e32 v100, v56, v67
	v_fma_f32 v102, v56, v66, -v54
	global_load_dwordx2 v[54:55], v94, s[0:1]
	v_fmac_f32_e32 v100, v57, v66
	s_waitcnt vmcnt(9)
	v_mul_f32_e32 v67, v69, v75
	v_mul_f32_e32 v101, v68, v75
	v_fma_f32 v94, v68, v74, -v67
	global_load_dwordx2 v[56:57], v84, s[0:1]
	global_load_dwordx2 v[66:67], v88, s[0:1] offset:2048
	v_bfe_u32 v68, v80, 16, 8
	v_lshl_or_b32 v68, v68, 3, v79
	v_fmac_f32_e32 v101, v69, v74
	global_load_dwordx2 v[68:69], v68, s[0:1]
	s_waitcnt vmcnt(10)
	v_mul_f32_e32 v74, v71, v73
	v_mul_f32_e32 v84, v70, v73
	v_fma_f32 v80, v70, v72, -v74
	v_fmac_f32_e32 v84, v71, v72
	v_mov_b32_e32 v70, v50
	v_lshlrev_b32_sdwa v50, v1, v78 dst_sel:DWORD dst_unused:UNUSED_PAD src0_sel:DWORD src1_sel:BYTE_1
	v_bfe_u32 v71, v78, 16, 8
	v_pk_mul_f32 v[52:53], v[90:91], v[76:77]
	global_load_dwordx2 v[76:77], v50, s[0:1] offset:2048
	v_lshl_or_b32 v50, v71, 3, v79
	global_load_dwordx2 v[72:73], v50, s[0:1]
	v_mul_lo_u32 v78, v20, v99
	v_mov_b32_e32 v92, v12
	v_mov_b32_e32 v93, v6
	v_lshlrev_b32_sdwa v50, v1, v78 dst_sel:DWORD dst_unused:UNUSED_PAD src0_sel:DWORD src1_sel:BYTE_0
	v_lshlrev_b32_sdwa v71, v1, v78 dst_sel:DWORD dst_unused:UNUSED_PAD src0_sel:DWORD src1_sel:BYTE_1
	v_pk_fma_f32 v[52:53], v[92:93], v[86:87], v[52:53] neg_lo:[0,0,1] neg_hi:[0,0,1]
	global_load_dwordx2 v[74:75], v50, s[0:1]
	global_load_dwordx2 v[86:87], v71, s[0:1] offset:2048
	v_mov_b32_e32 v71, v48
	s_waitcnt vmcnt(13)
	v_mov_b32_e32 v91, v14
	v_pk_mul_f32 v[90:91], v[90:91], v[70:71]
	v_mul_f32_e32 v70, v11, v46
	v_fmac_f32_e32 v70, v10, v47
	v_mov_b32_e32 v92, v10
	v_bfe_u32 v10, v78, 16, 8
	v_lshl_or_b32 v10, v10, 3, v79
	v_mov_b32_e32 v93, v14
	v_mov_b32_e32 v14, v11
	global_load_dwordx2 v[10:11], v10, s[0:1]
	v_mov_b32_e32 v13, v12
	v_mov_b32_e32 v12, v15
	v_mov_b32_e32 v50, v49
	v_pk_fma_f32 v[12:13], v[12:13], v[50:51], v[90:91] op_sel:[0,0,1] op_sel_hi:[1,1,0]
	s_waitcnt vmcnt(12)
	v_mul_f32_e32 v125, v102, v65
	v_mov_b32_e32 v12, v15
	v_pk_fma_f32 v[50:51], v[12:13], v[48:49], v[90:91] op_sel:[0,1,1] op_sel_hi:[1,1,0] neg_lo:[1,0,0] neg_hi:[1,0,0]
	v_mov_b32_e32 v90, v47
	v_mov_b32_e32 v91, v48
	v_mov_b32_e32 v48, v46
	v_pk_mul_f32 v[14:15], v[14:15], v[90:91]
	v_mov_b32_e32 v91, v45
	v_pk_fma_f32 v[46:47], v[92:93], v[48:49], v[14:15] neg_lo:[0,0,1] neg_hi:[0,0,1]
	v_pk_fma_f32 v[48:49], v[92:93], v[48:49], v[14:15]
	v_mov_b32_e32 v15, v6
	v_mov_b32_e32 v6, v17
	;; [unrolled: 1-line block ×6, first 2 shown]
	v_pk_mul_f32 v[6:7], v[6:7], v[44:45]
	v_mul_f32_e32 v92, v9, v42
	v_pk_fma_f32 v[44:45], v[14:15], v[90:91], v[6:7]
	v_pk_fma_f32 v[6:7], v[16:17], v[40:41], v[6:7] op_sel_hi:[1,0,1] neg_lo:[0,0,1] neg_hi:[0,0,1]
	v_mov_b32_e32 v14, v43
	v_mul_f32_e32 v7, v95, v63
	v_fma_f32 v12, v62, v82, -v7
	v_mul_f32_e32 v7, v100, v65
	v_mov_b32_e32 v15, v40
	v_mov_b32_e32 v91, v16
	;; [unrolled: 1-line block ×3, first 2 shown]
	v_fma_f32 v124, v64, v102, -v7
	v_pk_mul_f32 v[14:15], v[16:17], v[14:15]
	v_mov_b32_e32 v90, v8
	v_mov_b32_e32 v40, v42
	v_fmac_f32_e32 v92, v8, v43
	v_pk_fma_f32 v[8:9], v[90:91], v[40:41], v[14:15] neg_lo:[0,0,1] neg_hi:[0,0,1]
	v_pk_fma_f32 v[42:43], v[90:91], v[40:41], v[14:15]
	v_mul_f32_e32 v44, v82, v63
	v_mov_b32_e32 v51, v13
	v_fmac_f32_e32 v44, v62, v95
	s_waitcnt vmcnt(8)
	v_mul_f32_e32 v7, v84, v55
	v_fma_f32 v126, v54, v80, -v7
	v_mul_f32_e32 v127, v80, v55
	v_fmac_f32_e32 v127, v54, v84
	v_mul_f32_e32 v129, v94, v61
	s_waitcnt vmcnt(6)
	v_mul_f32_e32 v7, v56, v66
	v_fma_f32 v7, -v57, v67, v7
	v_pk_mul_f32 v[14:15], v[56:57], v[66:67] op_sel:[1,0] op_sel_hi:[0,1]
	v_add_f32_e32 v9, v14, v15
	s_waitcnt vmcnt(5)
	v_mul_f32_e32 v84, v7, v69
	v_fmac_f32_e32 v84, v68, v9
	v_mul_f32_e32 v9, v9, v69
	v_fma_f32 v80, v68, v7, -v9
	v_mul_f32_e32 v7, v101, v61
	v_fma_f32 v128, v60, v94, -v7
	v_mov_b32_e32 v71, v46
	v_mov_b32_e32 v93, v8
	v_fmac_f32_e32 v125, v64, v100
	s_waitcnt vmcnt(4)
	v_mul_f32_e32 v7, v58, v76
	v_fma_f32 v7, -v59, v77, v7
	v_pk_mul_f32 v[14:15], v[58:59], v[76:77] op_sel:[1,0] op_sel_hi:[0,1]
	v_add_f32_e32 v9, v14, v15
	s_waitcnt vmcnt(3)
	v_mul_f32_e32 v78, v7, v73
	v_fmac_f32_e32 v78, v72, v9
	v_mul_f32_e32 v9, v9, v73
	v_fma_f32 v82, v72, v7, -v9
	v_fmac_f32_e32 v129, v60, v101
	s_waitcnt vmcnt(1)
	v_mul_f32_e32 v7, v74, v86
	v_fma_f32 v7, -v75, v87, v7
	v_pk_mul_f32 v[14:15], v[74:75], v[86:87] op_sel:[1,0] op_sel_hi:[0,1]
	v_add_f32_e32 v9, v14, v15
	v_mul_lo_u32 v14, v20, v85
	v_lshlrev_b32_sdwa v42, v1, v14 dst_sel:DWORD dst_unused:UNUSED_PAD src0_sel:DWORD src1_sel:BYTE_0
	v_lshlrev_b32_sdwa v47, v1, v14 dst_sel:DWORD dst_unused:UNUSED_PAD src0_sel:DWORD src1_sel:BYTE_1
	v_bfe_u32 v14, v14, 16, 8
	v_lshl_or_b32 v48, v14, 3, v79
	global_load_dwordx2 v[16:17], v42, s[0:1]
	global_load_dwordx2 v[40:41], v47, s[0:1] offset:2048
	global_load_dwordx2 v[14:15], v48, s[0:1]
	v_mov_b32_e32 v47, v49
	s_waitcnt vmcnt(3)
	v_mul_f32_e32 v86, v7, v11
	v_fmac_f32_e32 v86, v10, v9
	v_mul_f32_e32 v9, v9, v11
	v_fma_f32 v88, v10, v7, -v9
	v_mov_b32_e32 v7, v45
	v_mov_b32_e32 v10, v53
	;; [unrolled: 1-line block ×3, first 2 shown]
	v_pk_add_f32 v[94:95], v[52:53], v[10:11]
	v_mov_b32_e32 v10, v13
	v_mov_b32_e32 v11, v52
	;; [unrolled: 1-line block ×3, first 2 shown]
	v_pk_add_f32 v[102:103], v[46:47], v[8:9]
	v_mov_b32_e32 v8, v43
	v_mov_b32_e32 v9, v6
	v_pk_add_f32 v[104:105], v[50:51], v[6:7]
	v_mov_b32_e32 v6, v49
	v_mov_b32_e32 v7, v50
	v_add_f32_e32 v91, v70, v92
	v_pk_add_f32 v[92:93], v[70:71], v[92:93] neg_lo:[0,1] neg_hi:[0,1]
	v_pk_add_f32 v[100:101], v[10:11], v[52:53] neg_lo:[0,1] neg_hi:[0,1]
	;; [unrolled: 1-line block ×3, first 2 shown]
	v_mov_b32_e32 v9, v93
	v_mov_b32_e32 v8, v6
	;; [unrolled: 1-line block ×4, first 2 shown]
	v_pk_add_f32 v[106:107], v[8:9], v[10:11] neg_lo:[0,1] neg_hi:[0,1]
	v_mov_b32_e32 v8, v92
	v_mov_b32_e32 v9, v7
	v_pk_add_f32 v[10:11], v[6:7], v[100:101]
	v_mov_b32_e32 v7, v101
	v_pk_add_f32 v[108:109], v[8:9], v[6:7] neg_lo:[0,1] neg_hi:[0,1]
	v_pk_add_f32 v[6:7], v[94:95], v[102:103]
	v_add_f32_e32 v9, v105, v91
	v_mov_b32_e32 v7, v103
	v_mov_b32_e32 v8, v104
	v_pk_add_f32 v[6:7], v[6:7], v[8:9]
	v_mov_b32_e32 v90, v104
	v_pk_add_f32 v[8:9], v[6:7], v[38:39]
	v_mov_b32_e32 v95, v103
	v_pk_fma_f32 v[110:111], v[6:7], s[16:17], v[8:9] op_sel_hi:[1,0,1]
	v_pk_add_f32 v[6:7], v[90:91], v[94:95] neg_lo:[0,1] neg_hi:[0,1]
	v_mul_f32_e32 v13, v9, v44
	v_pk_mul_f32 v[114:115], v[6:7], s[20:21]
	v_add_u32_e32 v6, 24, v85
	v_mul_f32_e32 v65, v8, v44
	v_mul_lo_u32 v6, v20, v6
	v_fma_f32 v64, v8, v12, -v13
	v_fmac_f32_e32 v65, v9, v12
	v_lshlrev_b32_sdwa v7, v1, v6 dst_sel:DWORD dst_unused:UNUSED_PAD src0_sel:DWORD src1_sel:BYTE_0
	v_lshlrev_b32_sdwa v8, v1, v6 dst_sel:DWORD dst_unused:UNUSED_PAD src0_sel:DWORD src1_sel:BYTE_1
	v_bfe_u32 v6, v6, 16, 8
	v_add_u32_e32 v9, 48, v85
	v_lshl_or_b32 v6, v6, 3, v79
	v_mul_lo_u32 v9, v20, v9
	v_pk_add_f32 v[112:113], v[10:11], v[92:93]
	v_lshlrev_b32_sdwa v10, v1, v9 dst_sel:DWORD dst_unused:UNUSED_PAD src0_sel:DWORD src1_sel:BYTE_0
	global_load_dwordx2 v[44:45], v7, s[0:1]
	global_load_dwordx2 v[46:47], v8, s[0:1] offset:2048
	global_load_dwordx2 v[42:43], v6, s[0:1]
	global_load_dwordx2 v[38:39], v10, s[0:1]
	v_bfe_u32 v6, v9, 16, 8
	v_lshl_or_b32 v11, v6, 3, v79
	v_add_u32_e32 v6, 0x48, v85
	v_mul_lo_u32 v6, v20, v6
	v_lshlrev_b32_sdwa v12, v1, v6 dst_sel:DWORD dst_unused:UNUSED_PAD src0_sel:DWORD src1_sel:BYTE_0
	v_lshlrev_b32_sdwa v13, v1, v6 dst_sel:DWORD dst_unused:UNUSED_PAD src0_sel:DWORD src1_sel:BYTE_1
	v_bfe_u32 v6, v6, 16, 8
	v_lshl_or_b32 v87, v6, 3, v79
	v_or_b32_e32 v6, 0x60, v85
	v_mul_lo_u32 v6, v20, v6
	v_lshlrev_b32_sdwa v90, v1, v6 dst_sel:DWORD dst_unused:UNUSED_PAD src0_sel:DWORD src1_sel:BYTE_0
	v_lshlrev_b32_sdwa v95, v1, v6 dst_sel:DWORD dst_unused:UNUSED_PAD src0_sel:DWORD src1_sel:BYTE_1
	v_bfe_u32 v6, v6, 16, 8
	v_lshl_or_b32 v116, v6, 3, v79
	v_add_u32_e32 v6, 0x78, v85
	v_mul_lo_u32 v6, v20, v6
	v_lshlrev_b32_sdwa v117, v1, v6 dst_sel:DWORD dst_unused:UNUSED_PAD src0_sel:DWORD src1_sel:BYTE_0
	v_lshlrev_b32_sdwa v118, v1, v6 dst_sel:DWORD dst_unused:UNUSED_PAD src0_sel:DWORD src1_sel:BYTE_1
	v_bfe_u32 v6, v6, 16, 8
	v_lshl_or_b32 v119, v6, 3, v79
	v_add_u32_e32 v6, 0x90, v85
	v_mul_lo_u32 v6, v20, v6
	v_lshlrev_b32_sdwa v10, v1, v9 dst_sel:DWORD dst_unused:UNUSED_PAD src0_sel:DWORD src1_sel:BYTE_1
	v_lshlrev_b32_sdwa v85, v1, v6 dst_sel:DWORD dst_unused:UNUSED_PAD src0_sel:DWORD src1_sel:BYTE_0
	v_lshlrev_b32_sdwa v1, v1, v6 dst_sel:DWORD dst_unused:UNUSED_PAD src0_sel:DWORD src1_sel:BYTE_1
	v_bfe_u32 v6, v6, 16, 8
	v_lshl_or_b32 v79, v6, 3, v79
	global_load_dwordx2 v[76:77], v10, s[0:1] offset:2048
	global_load_dwordx2 v[74:75], v11, s[0:1]
	global_load_dwordx2 v[70:71], v12, s[0:1]
	global_load_dwordx2 v[72:73], v13, s[0:1] offset:2048
	global_load_dwordx2 v[68:69], v87, s[0:1]
	global_load_dwordx2 v[62:63], v90, s[0:1]
	;; [unrolled: 3-line block ×4, first 2 shown]
	global_load_dwordx2 v[52:53], v1, s[0:1] offset:2048
	global_load_dwordx2 v[48:49], v79, s[0:1]
	global_load_dwordx4 v[6:9], v81, s[14:15] offset:208
                                        ; kill: killed $vgpr95
                                        ; kill: killed $vgpr87
                                        ; kill: killed $vgpr90
                                        ; kill: killed $vgpr13
                                        ; kill: killed $vgpr11
                                        ; kill: killed $vgpr12
                                        ; kill: killed $vgpr10
                                        ; kill: killed $vgpr79
                                        ; kill: killed $sgpr0_sgpr1
                                        ; kill: killed $vgpr1
                                        ; kill: killed $vgpr119
                                        ; kill: killed $vgpr85
                                        ; kill: killed $vgpr118
                                        ; kill: killed $vgpr116
                                        ; kill: killed $vgpr117
	global_load_dwordx4 v[10:13], v81, s[14:15] offset:192
	s_mov_b32 s0, 0x3eae86e6
	s_mov_b32 s1, 0xbf08b237
	;; [unrolled: 1-line block ×6, first 2 shown]
	v_pk_add_f32 v[116:117], v[102:103], v[104:105] neg_lo:[0,1] neg_hi:[0,1]
	v_mov_b32_e32 v95, v105
	v_mov_b32_e32 v103, v91
	v_pk_mul_f32 v[106:107], v[106:107], s[20:21]
	v_pk_add_f32 v[90:91], v[94:95], v[102:103] neg_lo:[0,1] neg_hi:[0,1]
	v_pk_add_f32 v[92:93], v[100:101], v[92:93] neg_lo:[0,1] neg_hi:[0,1]
	v_pk_mul_f32 v[94:95], v[116:117], s[16:17]
	v_pk_mul_f32 v[100:101], v[108:109], s[0:1]
	s_mov_b32 s14, 0x3ee1c552
	v_pk_fma_f32 v[118:119], v[116:117], s[16:17], v[114:115]
	v_pk_fma_f32 v[120:121], v[108:109], s[0:1], v[106:107]
	s_mov_b32 s0, 0x3f3bfb3b
	s_mov_b32 s16, 0x3f5ff5aa
	v_mov_b32_e32 v102, v94
	v_mov_b32_e32 v103, v115
	;; [unrolled: 1-line block ×4, first 2 shown]
	v_pk_add_f32 v[118:119], v[118:119], v[110:111]
	v_pk_fma_f32 v[120:121], v[112:113], s[14:15], v[120:121] op_sel_hi:[1,0,1]
	v_pk_fma_f32 v[102:103], v[90:91], s[0:1], v[102:103] op_sel_hi:[1,0,1] neg_lo:[1,0,1] neg_hi:[1,0,1]
	v_pk_fma_f32 v[104:105], v[92:93], s[16:17], v[104:105] op_sel_hi:[1,0,1] neg_lo:[1,0,1] neg_hi:[1,0,1]
	v_pk_add_f32 v[122:123], v[120:121], v[118:119]
	v_pk_add_f32 v[118:119], v[118:119], v[120:121] neg_lo:[0,1] neg_hi:[0,1]
	v_pk_add_f32 v[102:103], v[102:103], v[110:111]
	v_pk_fma_f32 v[104:105], v[112:113], s[14:15], v[104:105] op_sel_hi:[1,0,1]
	v_mov_b32_e32 v115, v95
	v_pk_add_f32 v[108:109], v[104:105], v[102:103]
	v_pk_add_f32 v[102:103], v[102:103], v[104:105] neg_lo:[0,1] neg_hi:[0,1]
	v_pk_fma_f32 v[94:95], v[90:91], s[0:1], v[114:115] op_sel_hi:[1,0,1] neg_lo:[0,0,1] neg_hi:[0,0,1]
	v_mov_b32_e32 v107, v101
	v_cmp_gt_u32_e64 s[0:1], s18, v0
	v_mul_f32_e32 v0, v119, v125
	v_pk_fma_f32 v[100:101], v[92:93], s[16:17], v[106:107] op_sel_hi:[1,0,1] neg_lo:[0,0,1] neg_hi:[0,0,1]
	v_fma_f32 v92, v122, v124, -v0
	v_mul_f32_e32 v0, v103, v127
	v_fma_f32 v90, v108, v126, -v0
	v_pk_add_f32 v[0:1], v[94:95], v[110:111]
	v_pk_fma_f32 v[94:95], v[112:113], s[14:15], v[100:101] op_sel_hi:[1,0,1]
	v_mov_b32_e32 v110, v102
	v_pk_add_f32 v[100:101], v[0:1], v[94:95] neg_lo:[0,1] neg_hi:[0,1]
	v_pk_add_f32 v[0:1], v[0:1], v[94:95]
	v_mov_b32_e32 v95, v100
	v_mov_b32_e32 v94, v1
	v_pk_mul_f32 v[84:85], v[94:95], v[84:85] op_sel_hi:[1,0]
	v_mov_b32_e32 v94, v100
	v_mov_b32_e32 v95, v1
	v_mul_f32_e32 v1, v101, v129
	v_pk_fma_f32 v[106:107], v[94:95], v[80:81], v[84:85] op_sel_hi:[1,0,1]
	v_pk_fma_f32 v[94:95], v[100:101], v[80:81], v[84:85] neg_lo:[0,0,1] neg_hi:[0,0,1]
	v_fma_f32 v84, v0, v128, -v1
	v_mul_f32_e32 v85, v0, v129
	v_mov_b32_e32 v0, v109
	v_mov_b32_e32 v1, v102
	;; [unrolled: 1-line block ×3, first 2 shown]
	v_pk_mul_f32 v[0:1], v[0:1], v[78:79] op_sel_hi:[1,0]
	v_mov_b32_e32 v104, v118
	v_pk_fma_f32 v[80:81], v[102:103], v[82:83], v[0:1] neg_lo:[0,0,1] neg_hi:[0,0,1]
	v_pk_fma_f32 v[0:1], v[110:111], v[82:83], v[0:1] op_sel_hi:[1,0,1]
	v_mov_b32_e32 v105, v123
	v_mov_b32_e32 v81, v1
	;; [unrolled: 1-line block ×4, first 2 shown]
	v_pk_mul_f32 v[0:1], v[0:1], v[86:87] op_sel_hi:[1,0]
	v_mul_f32_e32 v93, v122, v125
	v_mul_f32_e32 v91, v108, v127
	v_pk_fma_f32 v[78:79], v[118:119], v[88:89], v[0:1] neg_lo:[0,0,1] neg_hi:[0,0,1]
	v_pk_fma_f32 v[0:1], v[104:105], v[88:89], v[0:1] op_sel_hi:[1,0,1]
	v_fmac_f32_e32 v93, v119, v124
	v_fmac_f32_e32 v91, v103, v126
	v_mov_b32_e32 v95, v107
	v_fmac_f32_e32 v85, v101, v128
	v_mov_b32_e32 v79, v1
	s_cbranch_vccnz .LBB0_20
; %bb.19:
	v_mad_u64_u32 v[0:1], s[2:3], s10, v18, 0
	v_mov_b32_e32 v82, v1
	v_mad_u64_u32 v[86:87], s[2:3], s11, v18, v[82:83]
	v_mov_b32_e32 v1, v86
	;; [unrolled: 2-line block ×3, first 2 shown]
	v_mad_u64_u32 v[100:101], s[2:3], s5, v27, v[82:83]
	s_lshl_b64 s[2:3], s[6:7], 3
	s_add_u32 s2, s12, s2
	s_addc_u32 s3, s13, s3
	v_mov_b32_e32 v87, v100
	v_lshl_add_u64 v[0:1], v[0:1], 3, s[2:3]
	v_lshl_add_u64 v[86:87], v[86:87], 3, v[0:1]
	global_store_dwordx2 v[86:87], v[64:65], off
	v_mad_u64_u32 v[86:87], s[2:3], s4, v89, 0
	v_mov_b32_e32 v82, v87
	v_mad_u64_u32 v[100:101], s[2:3], s5, v89, v[82:83]
	v_mov_b32_e32 v87, v100
	v_lshl_add_u64 v[86:87], v[86:87], 3, v[0:1]
	global_store_dwordx2 v[86:87], v[92:93], off
	v_mad_u64_u32 v[86:87], s[2:3], s4, v96, 0
	v_mov_b32_e32 v82, v87
	v_mad_u64_u32 v[100:101], s[2:3], s5, v96, v[82:83]
	v_mov_b32_e32 v87, v100
	;; [unrolled: 6-line block ×3, first 2 shown]
	v_lshl_add_u64 v[86:87], v[86:87], 3, v[0:1]
	v_add_u32_e32 v88, 0x60, v27
	global_store_dwordx2 v[86:87], v[94:95], off
	v_mad_u64_u32 v[86:87], s[2:3], s4, v88, 0
	v_mov_b32_e32 v82, v87
	v_mad_u64_u32 v[100:101], s[2:3], s5, v88, v[82:83]
	v_mov_b32_e32 v87, v100
	v_lshl_add_u64 v[86:87], v[86:87], 3, v[0:1]
	global_store_dwordx2 v[86:87], v[84:85], off
	v_mad_u64_u32 v[86:87], s[2:3], s4, v97, 0
	v_mov_b32_e32 v82, v87
	v_mad_u64_u32 v[100:101], s[2:3], s5, v97, v[82:83]
	v_mov_b32_e32 v87, v100
	v_lshl_add_u64 v[86:87], v[86:87], 3, v[0:1]
	;; [unrolled: 6-line block ×3, first 2 shown]
	s_and_b64 s[2:3], s[0:1], exec
	global_store_dwordx2 v[86:87], v[78:79], off
	s_cbranch_execz .LBB0_21
	s_branch .LBB0_24
.LBB0_20:
	s_mov_b64 s[2:3], 0
                                        ; implicit-def: $vgpr0_vgpr1
.LBB0_21:
	v_cmp_gt_u64_e32 vcc, s[8:9], v[20:21]
                                        ; implicit-def: $vgpr0_vgpr1
	s_and_saveexec_b64 s[8:9], vcc
	s_cbranch_execz .LBB0_23
; %bb.22:
	v_mad_u64_u32 v[0:1], s[14:15], s10, v18, 0
	v_mov_b32_e32 v20, v1
	v_mad_u64_u32 v[20:21], s[10:11], s11, v18, v[20:21]
	v_mov_b32_e32 v1, v20
	v_mad_u64_u32 v[20:21], s[10:11], s4, v27, 0
	s_lshl_b64 s[6:7], s[6:7], 3
	v_mov_b32_e32 v18, v21
	s_add_u32 s6, s12, s6
	v_mad_u64_u32 v[86:87], s[10:11], s5, v27, v[18:19]
	s_addc_u32 s7, s13, s7
	v_mov_b32_e32 v21, v86
	v_lshl_add_u64 v[0:1], v[0:1], 3, s[6:7]
	v_lshl_add_u64 v[20:21], v[20:21], 3, v[0:1]
	global_store_dwordx2 v[20:21], v[64:65], off
	v_mad_u64_u32 v[20:21], s[6:7], s4, v89, 0
	v_mov_b32_e32 v18, v21
	v_mad_u64_u32 v[64:65], s[6:7], s5, v89, v[18:19]
	v_mov_b32_e32 v21, v64
	v_lshl_add_u64 v[20:21], v[20:21], 3, v[0:1]
	global_store_dwordx2 v[20:21], v[92:93], off
	v_mad_u64_u32 v[20:21], s[6:7], s4, v96, 0
	v_mov_b32_e32 v18, v21
	v_mad_u64_u32 v[64:65], s[6:7], s5, v96, v[18:19]
	v_mov_b32_e32 v21, v64
	v_lshl_add_u64 v[20:21], v[20:21], 3, v[0:1]
	v_add_u32_e32 v64, 0x48, v27
	global_store_dwordx2 v[20:21], v[90:91], off
	v_mad_u64_u32 v[20:21], s[6:7], s4, v64, 0
	v_mov_b32_e32 v18, v21
	v_mad_u64_u32 v[64:65], s[6:7], s5, v64, v[18:19]
	v_mov_b32_e32 v21, v64
	v_lshl_add_u64 v[20:21], v[20:21], 3, v[0:1]
	v_add_u32_e32 v64, 0x60, v27
	;; [unrolled: 7-line block ×4, first 2 shown]
	global_store_dwordx2 v[20:21], v[80:81], off
	v_mad_u64_u32 v[20:21], s[6:7], s4, v27, 0
	v_mov_b32_e32 v18, v21
	v_mad_u64_u32 v[64:65], s[6:7], s5, v27, v[18:19]
	v_mov_b32_e32 v21, v64
	s_andn2_b64 s[2:3], s[2:3], exec
	s_and_b64 s[0:1], s[0:1], exec
	v_lshl_add_u64 v[20:21], v[20:21], 3, v[0:1]
	s_or_b64 s[2:3], s[2:3], s[0:1]
	global_store_dwordx2 v[20:21], v[78:79], off
.LBB0_23:
	s_or_b64 exec, exec, s[8:9]
.LBB0_24:
	s_and_saveexec_b64 s[0:1], s[2:3]
	s_cbranch_execnz .LBB0_26
; %bb.25:
	s_endpgm
.LBB0_26:
	s_waitcnt vmcnt(1)
	v_pk_mul_f32 v[84:85], v[34:35], v[6:7]
	v_mov_b32_e32 v78, v32
	v_mov_b32_e32 v18, v85
	v_pk_fma_f32 v[84:85], v[34:35], v[6:7], v[18:19] neg_lo:[0,0,1] neg_hi:[0,0,1]
	v_mul_f32_e32 v18, v17, v41
	v_fma_f32 v18, v16, v40, -v18
	v_mul_f32_e32 v16, v16, v41
	v_fmac_f32_e32 v16, v17, v40
	v_mul_f32_e32 v17, v16, v15
	v_mul_f32_e32 v82, v18, v15
	v_fma_f32 v17, v14, v18, -v17
	v_fmac_f32_e32 v82, v14, v16
	v_mul_f32_e32 v14, v45, v47
	v_mul_f32_e32 v15, v44, v47
	v_fma_f32 v14, v44, v46, -v14
	v_fmac_f32_e32 v15, v45, v46
	v_mul_f32_e32 v16, v15, v43
	v_mul_f32_e32 v43, v14, v43
	v_fmac_f32_e32 v43, v42, v15
	v_mul_f32_e32 v15, v38, v77
	v_fma_f32 v86, v42, v14, -v16
	v_mul_f32_e32 v14, v39, v77
	v_fmac_f32_e32 v15, v39, v76
	v_fma_f32 v14, v38, v76, -v14
	v_mul_f32_e32 v16, v15, v75
	v_fma_f32 v76, v74, v14, -v16
	v_mul_f32_e32 v75, v14, v75
	v_mul_f32_e32 v14, v70, v72
	v_fmac_f32_e32 v75, v74, v15
	v_fma_f32 v16, -v71, v73, v14
	v_pk_mul_f32 v[14:15], v[70:71], v[72:73] op_sel:[1,0] op_sel_hi:[0,1]
	v_add_f32_e32 v15, v14, v15
	v_mul_f32_e32 v14, v15, v69
	v_fma_f32 v14, v68, v16, -v14
	v_mul_f32_e32 v16, v16, v69
	v_mul_f32_e32 v18, v62, v67
	v_fmac_f32_e32 v16, v68, v15
	v_mul_f32_e32 v15, v63, v67
	v_fmac_f32_e32 v18, v63, v66
	v_fma_f32 v15, v62, v66, -v15
	v_mul_f32_e32 v27, v18, v61
	v_fma_f32 v62, v60, v15, -v27
	v_mul_f32_e32 v15, v15, v61
	v_mov_b32_e32 v80, v5
	s_waitcnt vmcnt(0)
	v_mov_b32_e32 v81, v10
	v_mul_f32_e32 v32, v32, v3
	v_fmac_f32_e32 v15, v60, v18
	v_mul_f32_e32 v18, v56, v58
	v_pk_mul_f32 v[38:39], v[56:57], v[58:59] op_sel:[1,0] op_sel_hi:[0,1]
	v_mul_f32_e32 v5, v29, v5
	v_mov_b32_e32 v44, v28
	v_mov_b32_e32 v45, v24
	;; [unrolled: 1-line block ×4, first 2 shown]
	v_fmac_f32_e32 v32, v33, v2
	v_fma_f32 v27, -v57, v59, v18
	v_add_f32_e32 v33, v38, v39
	v_fma_f32 v5, v28, v4, -v5
	v_pk_mul_f32 v[44:45], v[44:45], v[80:81]
	v_mov_b32_e32 v28, v25
	v_mov_b32_e32 v24, v11
	;; [unrolled: 1-line block ×6, first 2 shown]
	v_mul_f32_e32 v18, v33, v55
	v_mul_f32_e32 v38, v27, v55
	v_pk_mul_f32 v[40:41], v[50:51], v[52:53] op_sel:[1,0] op_sel_hi:[0,1]
	v_pk_fma_f32 v[24:25], v[4:5], v[24:25], v[44:45] op_sel:[0,0,1] op_sel_hi:[0,1,0] neg_lo:[1,0,0] neg_hi:[1,0,0]
	v_pk_fma_f32 v[28:29], v[28:29], v[46:47], v[44:45] op_sel:[0,0,1] op_sel_hi:[1,1,0]
	v_mov_b32_e32 v45, v10
	v_mov_b32_e32 v10, v3
	v_mul_f32_e32 v36, v36, v9
	v_fma_f32 v18, v54, v27, -v18
	v_fmac_f32_e32 v38, v54, v33
	v_mul_f32_e32 v27, v50, v52
	v_add_f32_e32 v33, v40, v41
	v_mov_b32_e32 v44, v2
	v_pk_mul_f32 v[2:3], v[64:65], v[10:11]
	v_mov_b32_e32 v20, v37
	v_fmac_f32_e32 v36, v37, v8
	v_fma_f32 v27, -v51, v53, v27
	v_mul_f32_e32 v37, v33, v49
	v_pk_fma_f32 v[10:11], v[78:79], v[44:45], v[2:3] neg_lo:[0,0,1] neg_hi:[0,0,1]
	v_pk_fma_f32 v[2:3], v[78:79], v[44:45], v[2:3]
	v_mov_b32_e32 v45, v6
	v_mov_b32_e32 v46, v31
	;; [unrolled: 1-line block ×4, first 2 shown]
	v_fma_f32 v40, v48, v27, -v37
	v_mul_f32_e32 v42, v27, v49
	v_mov_b32_e32 v27, v35
	v_mov_b32_e32 v44, v12
	v_pk_mul_f32 v[6:7], v[46:47], v[6:7]
	v_mov_b32_e32 v21, v26
	v_pk_fma_f32 v[34:35], v[26:27], v[12:13], v[6:7] op_sel_hi:[0,1,1] neg_lo:[0,0,1] neg_hi:[0,0,1]
	v_pk_fma_f32 v[6:7], v[26:27], v[44:45], v[6:7]
	v_mov_b32_e32 v27, v12
	v_mov_b32_e32 v12, v9
	;; [unrolled: 1-line block ×3, first 2 shown]
	v_pk_mul_f32 v[8:9], v[20:21], v[12:13]
	v_mov_b32_e32 v11, v3
	v_pk_fma_f32 v[12:13], v[30:31], v[26:27], v[8:9] neg_lo:[0,0,1] neg_hi:[0,0,1]
	v_pk_fma_f32 v[8:9], v[30:31], v[26:27], v[8:9]
	v_fmac_f32_e32 v42, v48, v33
	v_mov_b32_e32 v13, v9
	v_mov_b32_e32 v25, v29
	;; [unrolled: 1-line block ×8, first 2 shown]
	v_pk_add_f32 v[10:11], v[10:11], v[12:13]
	v_mov_b32_e32 v8, v9
	v_mov_b32_e32 v9, v34
	;; [unrolled: 1-line block ×4, first 2 shown]
	v_add_f32_e32 v85, v32, v36
	v_pk_add_f32 v[20:21], v[32:33], v[36:37] neg_lo:[0,1] neg_hi:[0,1]
	v_add_f32_e32 v2, v5, v84
	v_pk_add_f32 v[4:5], v[4:5], v[6:7] neg_lo:[0,1] neg_hi:[0,1]
	v_pk_add_f32 v[6:7], v[24:25], v[34:35]
	v_pk_add_f32 v[8:9], v[8:9], v[12:13] neg_lo:[0,1] neg_hi:[0,1]
	s_mov_b32 s8, 0x3eae86e6
	v_add_f32_e32 v12, v2, v10
	v_add_f32_e32 v25, v7, v85
	v_mov_b32_e32 v84, v6
	v_mov_b32_e32 v3, v11
	v_mov_b32_e32 v32, v8
	v_mov_b32_e32 v33, v21
	v_mov_b32_e32 v34, v4
	v_mov_b32_e32 v35, v9
	v_mov_b32_e32 v13, v11
	v_mov_b32_e32 v24, v6
	s_mov_b32 s2, 0x3d64c772
	s_mov_b32 s9, 0xbf08b237
	v_pk_add_f32 v[26:27], v[84:85], v[2:3] neg_lo:[0,1] neg_hi:[0,1]
	v_pk_add_f32 v[30:31], v[8:9], v[4:5]
	v_pk_add_f32 v[32:33], v[32:33], v[34:35] neg_lo:[0,1] neg_hi:[0,1]
	v_mov_b32_e32 v34, v20
	v_mov_b32_e32 v9, v5
	v_pk_add_f32 v[12:13], v[12:13], v[24:25]
	s_mov_b32 s3, 0x3f4a47b2
	s_mov_b32 s10, s9
	;; [unrolled: 1-line block ×3, first 2 shown]
	v_pk_add_f32 v[28:29], v[10:11], v[6:7] neg_lo:[0,1] neg_hi:[0,1]
	v_pk_add_f32 v[8:9], v[34:35], v[8:9] neg_lo:[0,1] neg_hi:[0,1]
	v_pk_add_f32 v[22:23], v[22:23], v[12:13]
	s_mov_b32 s0, 0xbf955555
	v_pk_mul_f32 v[26:27], v[26:27], s[2:3]
	s_mov_b32 s6, s3
	s_mov_b32 s7, s2
	v_pk_mul_f32 v[32:33], v[32:33], s[10:11]
	v_pk_add_f32 v[24:25], v[30:31], v[20:21]
	v_pk_mul_f32 v[30:31], v[28:29], s[6:7]
	s_mov_b32 s2, 0x3ee1c552
	v_pk_mul_f32 v[34:35], v[8:9], s[8:9]
	v_pk_fma_f32 v[12:13], v[12:13], s[0:1], v[22:23] op_sel_hi:[1,0,1]
	v_pk_fma_f32 v[28:29], v[28:29], s[6:7], v[26:27]
	v_pk_fma_f32 v[8:9], v[8:9], s[8:9], v[32:33]
	v_pk_add_f32 v[28:29], v[28:29], v[12:13]
	v_pk_fma_f32 v[8:9], v[24:25], s[2:3], v[8:9] op_sel_hi:[1,0,1]
	v_mul_f32_e32 v3, v23, v82
	v_pk_add_f32 v[36:37], v[8:9], v[28:29]
	v_pk_add_f32 v[8:9], v[28:29], v[8:9] neg_lo:[0,1] neg_hi:[0,1]
	v_fma_f32 v44, v22, v17, -v3
	v_mul_f32_e32 v3, v9, v43
	v_mul_f32_e32 v45, v22, v82
	v_fma_f32 v22, v36, v86, -v3
	v_mov_b32_e32 v3, v7
	v_mov_b32_e32 v11, v85
	v_pk_add_f32 v[2:3], v[2:3], v[10:11] neg_lo:[0,1] neg_hi:[0,1]
	v_pk_add_f32 v[4:5], v[4:5], v[20:21] neg_lo:[0,1] neg_hi:[0,1]
	s_mov_b32 s0, 0x3f3bfb3b
	s_mov_b32 s6, 0x3f5ff5aa
	v_mov_b32_e32 v6, v30
	v_mov_b32_e32 v7, v27
	;; [unrolled: 1-line block ×6, first 2 shown]
	v_pk_fma_f32 v[6:7], v[2:3], s[0:1], v[6:7] op_sel_hi:[1,0,1] neg_lo:[1,0,1] neg_hi:[1,0,1]
	v_pk_fma_f32 v[10:11], v[4:5], s[6:7], v[10:11] op_sel_hi:[1,0,1] neg_lo:[1,0,1] neg_hi:[1,0,1]
	;; [unrolled: 1-line block ×4, first 2 shown]
	v_pk_add_f32 v[6:7], v[6:7], v[12:13]
	v_pk_fma_f32 v[10:11], v[24:25], s[2:3], v[10:11] op_sel_hi:[1,0,1]
	v_pk_add_f32 v[2:3], v[2:3], v[12:13]
	v_pk_fma_f32 v[4:5], v[24:25], s[2:3], v[4:5] op_sel_hi:[1,0,1]
	v_pk_add_f32 v[20:21], v[10:11], v[6:7]
	v_pk_add_f32 v[6:7], v[6:7], v[10:11] neg_lo:[0,1] neg_hi:[0,1]
	v_pk_add_f32 v[12:13], v[2:3], v[4:5] neg_lo:[0,1] neg_hi:[0,1]
	v_pk_add_f32 v[2:3], v[2:3], v[4:5]
	v_fmac_f32_e32 v45, v23, v17
	v_mul_f32_e32 v17, v7, v75
	v_mov_b32_e32 v24, v3
	v_mov_b32_e32 v25, v12
	v_fma_f32 v46, v20, v76, -v17
	v_mov_b32_e32 v4, v12
	v_mov_b32_e32 v5, v3
	v_pk_mul_f32 v[16:17], v[24:25], v[16:17] op_sel_hi:[1,0]
	v_mul_f32_e32 v3, v13, v15
	v_pk_fma_f32 v[24:25], v[12:13], v[14:15], v[16:17] neg_lo:[0,0,1] neg_hi:[0,0,1]
	v_pk_fma_f32 v[4:5], v[4:5], v[14:15], v[16:17] op_sel_hi:[1,0,1]
	v_fma_f32 v14, v2, v62, -v3
	v_mul_f32_e32 v15, v2, v15
	v_mov_b32_e32 v2, v21
	v_mov_b32_e32 v3, v6
	;; [unrolled: 1-line block ×4, first 2 shown]
	v_mul_f32_e32 v47, v20, v75
	v_pk_mul_f32 v[2:3], v[2:3], v[38:39] op_sel_hi:[1,0]
	v_fmac_f32_e32 v47, v7, v76
	v_fmac_f32_e32 v15, v13, v62
	v_pk_fma_f32 v[6:7], v[6:7], v[18:19], v[2:3] neg_lo:[0,0,1] neg_hi:[0,0,1]
	v_pk_fma_f32 v[2:3], v[10:11], v[18:19], v[2:3] op_sel_hi:[1,0,1]
	v_mad_u64_u32 v[12:13], s[0:1], s4, v19, 0
	v_mov_b32_e32 v2, v13
	v_mad_u64_u32 v[16:17], s[0:1], s5, v19, v[2:3]
	v_mov_b32_e32 v13, v16
	v_lshl_add_u64 v[12:13], v[12:13], 3, v[0:1]
	v_add_u32_e32 v4, 38, v83
	global_store_dwordx2 v[12:13], v[44:45], off
	v_mad_u64_u32 v[12:13], s[0:1], s4, v4, 0
	v_mov_b32_e32 v2, v13
	v_mad_u64_u32 v[16:17], s[0:1], s5, v4, v[2:3]
	v_mul_f32_e32 v23, v36, v43
	v_mov_b32_e32 v13, v16
	v_fmac_f32_e32 v23, v9, v86
	v_lshl_add_u64 v[12:13], v[12:13], 3, v[0:1]
	v_add_u32_e32 v4, 62, v83
	global_store_dwordx2 v[12:13], v[22:23], off
	v_mad_u64_u32 v[12:13], s[0:1], s4, v4, 0
	v_mov_b32_e32 v2, v13
	v_mad_u64_u32 v[16:17], s[0:1], s5, v4, v[2:3]
	v_mov_b32_e32 v13, v16
	v_lshl_add_u64 v[12:13], v[12:13], 3, v[0:1]
	v_add_u32_e32 v4, 0x56, v83
	global_store_dwordx2 v[12:13], v[46:47], off
	v_mad_u64_u32 v[12:13], s[0:1], s4, v4, 0
	v_mov_b32_e32 v2, v13
	v_mad_u64_u32 v[16:17], s[0:1], s5, v4, v[2:3]
	v_add_u32_e32 v7, 0x6e, v83
	v_mov_b32_e32 v13, v16
	v_mov_b32_e32 v25, v5
	v_mad_u64_u32 v[4:5], s[0:1], s4, v7, 0
	v_lshl_add_u64 v[12:13], v[12:13], 3, v[0:1]
	v_mov_b32_e32 v2, v5
	global_store_dwordx2 v[12:13], v[24:25], off
	v_mad_u64_u32 v[12:13], s[0:1], s5, v7, v[2:3]
	v_mov_b32_e32 v5, v12
	v_lshl_add_u64 v[4:5], v[4:5], 3, v[0:1]
	v_add_u32_e32 v7, 0x86, v83
	global_store_dwordx2 v[4:5], v[14:15], off
	v_mad_u64_u32 v[4:5], s[0:1], s4, v7, 0
	v_mov_b32_e32 v2, v5
	v_mad_u64_u32 v[12:13], s[0:1], s5, v7, v[2:3]
	v_mov_b32_e32 v5, v12
	v_lshl_add_u64 v[4:5], v[4:5], 3, v[0:1]
	v_mov_b32_e32 v7, v3
	global_store_dwordx2 v[4:5], v[6:7], off
	v_add_u32_e32 v5, 0x9e, v83
	v_mad_u64_u32 v[2:3], s[0:1], s4, v5, 0
	v_mov_b32_e32 v10, v37
	v_mov_b32_e32 v11, v8
	;; [unrolled: 1-line block ×5, first 2 shown]
	v_pk_mul_f32 v[10:11], v[10:11], v[42:43] op_sel_hi:[1,0]
	v_mad_u64_u32 v[4:5], s[0:1], s5, v5, v[4:5]
	v_pk_fma_f32 v[8:9], v[8:9], v[40:41], v[10:11] neg_lo:[0,0,1] neg_hi:[0,0,1]
	v_pk_fma_f32 v[10:11], v[28:29], v[40:41], v[10:11] op_sel_hi:[1,0,1]
	v_mov_b32_e32 v3, v4
	v_lshl_add_u64 v[0:1], v[2:3], 3, v[0:1]
	v_mov_b32_e32 v9, v11
	global_store_dwordx2 v[0:1], v[8:9], off
	s_endpgm
	.section	.rodata,"a",@progbits
	.p2align	6, 0x0
	.amdhsa_kernel fft_rtc_fwd_len168_factors_2_3_4_7_wgs_196_tpt_14_dim3_sp_ip_CI_sbcc_twdbase8_3step_dirReg
		.amdhsa_group_segment_fixed_size 0
		.amdhsa_private_segment_fixed_size 0
		.amdhsa_kernarg_size 88
		.amdhsa_user_sgpr_count 2
		.amdhsa_user_sgpr_dispatch_ptr 0
		.amdhsa_user_sgpr_queue_ptr 0
		.amdhsa_user_sgpr_kernarg_segment_ptr 1
		.amdhsa_user_sgpr_dispatch_id 0
		.amdhsa_user_sgpr_kernarg_preload_length 0
		.amdhsa_user_sgpr_kernarg_preload_offset 0
		.amdhsa_user_sgpr_private_segment_size 0
		.amdhsa_uses_dynamic_stack 0
		.amdhsa_enable_private_segment 0
		.amdhsa_system_sgpr_workgroup_id_x 1
		.amdhsa_system_sgpr_workgroup_id_y 0
		.amdhsa_system_sgpr_workgroup_id_z 0
		.amdhsa_system_sgpr_workgroup_info 0
		.amdhsa_system_vgpr_workitem_id 0
		.amdhsa_next_free_vgpr 130
		.amdhsa_next_free_sgpr 27
		.amdhsa_accum_offset 132
		.amdhsa_reserve_vcc 1
		.amdhsa_float_round_mode_32 0
		.amdhsa_float_round_mode_16_64 0
		.amdhsa_float_denorm_mode_32 3
		.amdhsa_float_denorm_mode_16_64 3
		.amdhsa_dx10_clamp 1
		.amdhsa_ieee_mode 1
		.amdhsa_fp16_overflow 0
		.amdhsa_tg_split 0
		.amdhsa_exception_fp_ieee_invalid_op 0
		.amdhsa_exception_fp_denorm_src 0
		.amdhsa_exception_fp_ieee_div_zero 0
		.amdhsa_exception_fp_ieee_overflow 0
		.amdhsa_exception_fp_ieee_underflow 0
		.amdhsa_exception_fp_ieee_inexact 0
		.amdhsa_exception_int_div_zero 0
	.end_amdhsa_kernel
	.text
.Lfunc_end0:
	.size	fft_rtc_fwd_len168_factors_2_3_4_7_wgs_196_tpt_14_dim3_sp_ip_CI_sbcc_twdbase8_3step_dirReg, .Lfunc_end0-fft_rtc_fwd_len168_factors_2_3_4_7_wgs_196_tpt_14_dim3_sp_ip_CI_sbcc_twdbase8_3step_dirReg
                                        ; -- End function
	.section	.AMDGPU.csdata,"",@progbits
; Kernel info:
; codeLenInByte = 9432
; NumSgprs: 33
; NumVgprs: 130
; NumAgprs: 0
; TotalNumVgprs: 130
; ScratchSize: 0
; MemoryBound: 0
; FloatMode: 240
; IeeeMode: 1
; LDSByteSize: 0 bytes/workgroup (compile time only)
; SGPRBlocks: 4
; VGPRBlocks: 16
; NumSGPRsForWavesPerEU: 33
; NumVGPRsForWavesPerEU: 130
; AccumOffset: 132
; Occupancy: 3
; WaveLimiterHint : 1
; COMPUTE_PGM_RSRC2:SCRATCH_EN: 0
; COMPUTE_PGM_RSRC2:USER_SGPR: 2
; COMPUTE_PGM_RSRC2:TRAP_HANDLER: 0
; COMPUTE_PGM_RSRC2:TGID_X_EN: 1
; COMPUTE_PGM_RSRC2:TGID_Y_EN: 0
; COMPUTE_PGM_RSRC2:TGID_Z_EN: 0
; COMPUTE_PGM_RSRC2:TIDIG_COMP_CNT: 0
; COMPUTE_PGM_RSRC3_GFX90A:ACCUM_OFFSET: 32
; COMPUTE_PGM_RSRC3_GFX90A:TG_SPLIT: 0
	.text
	.p2alignl 6, 3212836864
	.fill 256, 4, 3212836864
	.type	__hip_cuid_69e620f17a3d1cec,@object ; @__hip_cuid_69e620f17a3d1cec
	.section	.bss,"aw",@nobits
	.globl	__hip_cuid_69e620f17a3d1cec
__hip_cuid_69e620f17a3d1cec:
	.byte	0                               ; 0x0
	.size	__hip_cuid_69e620f17a3d1cec, 1

	.ident	"AMD clang version 19.0.0git (https://github.com/RadeonOpenCompute/llvm-project roc-6.4.0 25133 c7fe45cf4b819c5991fe208aaa96edf142730f1d)"
	.section	".note.GNU-stack","",@progbits
	.addrsig
	.addrsig_sym __hip_cuid_69e620f17a3d1cec
	.amdgpu_metadata
---
amdhsa.kernels:
  - .agpr_count:     0
    .args:
      - .actual_access:  read_only
        .address_space:  global
        .offset:         0
        .size:           8
        .value_kind:     global_buffer
      - .address_space:  global
        .offset:         8
        .size:           8
        .value_kind:     global_buffer
      - .actual_access:  read_only
        .address_space:  global
        .offset:         16
        .size:           8
        .value_kind:     global_buffer
      - .actual_access:  read_only
        .address_space:  global
        .offset:         24
        .size:           8
        .value_kind:     global_buffer
      - .offset:         32
        .size:           8
        .value_kind:     by_value
      - .actual_access:  read_only
        .address_space:  global
        .offset:         40
        .size:           8
        .value_kind:     global_buffer
      - .actual_access:  read_only
        .address_space:  global
        .offset:         48
        .size:           8
        .value_kind:     global_buffer
      - .offset:         56
        .size:           4
        .value_kind:     by_value
      - .actual_access:  read_only
        .address_space:  global
        .offset:         64
        .size:           8
        .value_kind:     global_buffer
      - .actual_access:  read_only
        .address_space:  global
        .offset:         72
        .size:           8
        .value_kind:     global_buffer
      - .address_space:  global
        .offset:         80
        .size:           8
        .value_kind:     global_buffer
    .group_segment_fixed_size: 0
    .kernarg_segment_align: 8
    .kernarg_segment_size: 88
    .language:       OpenCL C
    .language_version:
      - 2
      - 0
    .max_flat_workgroup_size: 196
    .name:           fft_rtc_fwd_len168_factors_2_3_4_7_wgs_196_tpt_14_dim3_sp_ip_CI_sbcc_twdbase8_3step_dirReg
    .private_segment_fixed_size: 0
    .sgpr_count:     33
    .sgpr_spill_count: 0
    .symbol:         fft_rtc_fwd_len168_factors_2_3_4_7_wgs_196_tpt_14_dim3_sp_ip_CI_sbcc_twdbase8_3step_dirReg.kd
    .uniform_work_group_size: 1
    .uses_dynamic_stack: false
    .vgpr_count:     130
    .vgpr_spill_count: 0
    .wavefront_size: 64
amdhsa.target:   amdgcn-amd-amdhsa--gfx950
amdhsa.version:
  - 1
  - 2
...

	.end_amdgpu_metadata
